;; amdgpu-corpus repo=ROCm/AMDMIGraphX kind=compiled arch=gfx1030 opt=O3
	.text
	.amdgcn_target "amdgcn-amd-amdhsa--gfx1030"
	.amdhsa_code_object_version 6
	.p2align	2                               ; -- Begin function _ZNK8migraphx13basic_printerIZNS_4coutEvEUlT_E_ElsEPKc
	.type	_ZNK8migraphx13basic_printerIZNS_4coutEvEUlT_E_ElsEPKc,@function
_ZNK8migraphx13basic_printerIZNS_4coutEvEUlT_E_ElsEPKc: ; @_ZNK8migraphx13basic_printerIZNS_4coutEvEUlT_E_ElsEPKc
; %bb.0:
	s_waitcnt vmcnt(0) expcnt(0) lgkmcnt(0)
	s_load_dwordx2 s[6:7], s[8:9], 0x50
	v_mbcnt_lo_u32_b32 v33, -1, 0
	v_mov_b32_e32 v8, 0
	v_mov_b32_e32 v9, 0
	v_readfirstlane_b32 s4, v33
	v_cmp_eq_u32_e64 s4, s4, v33
	s_and_saveexec_b32 s5, s4
	s_cbranch_execz .LBB0_6
; %bb.1:
	v_mov_b32_e32 v2, 0
	s_mov_b32 s8, exec_lo
	s_waitcnt lgkmcnt(0)
	global_load_dwordx2 v[5:6], v2, s[6:7] offset:24 glc dlc
	s_waitcnt vmcnt(0)
	buffer_gl1_inv
	buffer_gl0_inv
	s_clause 0x1
	global_load_dwordx2 v[3:4], v2, s[6:7] offset:40
	global_load_dwordx2 v[7:8], v2, s[6:7]
	s_waitcnt vmcnt(1)
	v_and_b32_e32 v4, v4, v6
	v_and_b32_e32 v3, v3, v5
	v_mul_lo_u32 v4, v4, 24
	v_mul_hi_u32 v9, v3, 24
	v_mul_lo_u32 v3, v3, 24
	v_add_nc_u32_e32 v4, v9, v4
	s_waitcnt vmcnt(0)
	v_add_co_u32 v3, vcc_lo, v7, v3
	v_add_co_ci_u32_e32 v4, vcc_lo, v8, v4, vcc_lo
	global_load_dwordx2 v[3:4], v[3:4], off glc dlc
	s_waitcnt vmcnt(0)
	global_atomic_cmpswap_x2 v[8:9], v2, v[3:6], s[6:7] offset:24 glc
	s_waitcnt vmcnt(0)
	buffer_gl1_inv
	buffer_gl0_inv
	v_cmpx_ne_u64_e64 v[8:9], v[5:6]
	s_cbranch_execz .LBB0_5
; %bb.2:
	s_mov_b32 s9, 0
	.p2align	6
.LBB0_3:                                ; =>This Inner Loop Header: Depth=1
	s_sleep 1
	s_clause 0x1
	global_load_dwordx2 v[3:4], v2, s[6:7] offset:40
	global_load_dwordx2 v[10:11], v2, s[6:7]
	v_mov_b32_e32 v5, v8
	v_mov_b32_e32 v6, v9
	s_waitcnt vmcnt(1)
	v_and_b32_e32 v3, v3, v5
	v_and_b32_e32 v4, v4, v6
	s_waitcnt vmcnt(0)
	v_mad_u64_u32 v[7:8], null, v3, 24, v[10:11]
	v_mov_b32_e32 v3, v8
	v_mad_u64_u32 v[3:4], null, v4, 24, v[3:4]
	v_mov_b32_e32 v8, v3
	global_load_dwordx2 v[3:4], v[7:8], off glc dlc
	s_waitcnt vmcnt(0)
	global_atomic_cmpswap_x2 v[8:9], v2, v[3:6], s[6:7] offset:24 glc
	s_waitcnt vmcnt(0)
	buffer_gl1_inv
	buffer_gl0_inv
	v_cmp_eq_u64_e32 vcc_lo, v[8:9], v[5:6]
	s_or_b32 s9, vcc_lo, s9
	s_andn2_b32 exec_lo, exec_lo, s9
	s_cbranch_execnz .LBB0_3
; %bb.4:
	s_or_b32 exec_lo, exec_lo, s9
.LBB0_5:
	s_or_b32 exec_lo, exec_lo, s8
.LBB0_6:
	s_or_b32 exec_lo, exec_lo, s5
	v_mov_b32_e32 v7, 0
	v_readfirstlane_b32 s8, v8
	v_readfirstlane_b32 s9, v9
	s_mov_b32 s5, exec_lo
	s_waitcnt lgkmcnt(0)
	s_clause 0x1
	global_load_dwordx2 v[10:11], v7, s[6:7] offset:40
	global_load_dwordx4 v[2:5], v7, s[6:7]
	s_waitcnt vmcnt(1)
	v_readfirstlane_b32 s10, v10
	v_readfirstlane_b32 s11, v11
	s_and_b64 s[10:11], s[8:9], s[10:11]
	s_mul_i32 s12, s11, 24
	s_mul_hi_u32 s13, s10, 24
	s_mul_i32 s14, s10, 24
	s_add_i32 s13, s13, s12
	s_waitcnt vmcnt(0)
	v_add_co_u32 v10, vcc_lo, v2, s14
	v_add_co_ci_u32_e32 v11, vcc_lo, s13, v3, vcc_lo
	s_and_saveexec_b32 s12, s4
	s_cbranch_execz .LBB0_8
; %bb.7:
	v_mov_b32_e32 v6, s5
	v_mov_b32_e32 v8, 2
	;; [unrolled: 1-line block ×3, first 2 shown]
	global_store_dwordx4 v[10:11], v[6:9], off offset:8
.LBB0_8:
	s_or_b32 exec_lo, exec_lo, s12
	s_lshl_b64 s[10:11], s[10:11], 12
	v_lshlrev_b32_e32 v32, 6, v33
	v_add_co_u32 v4, vcc_lo, v4, s10
	v_add_co_ci_u32_e32 v5, vcc_lo, s11, v5, vcc_lo
	s_mov_b32 s12, 0
	v_add_co_u32 v12, vcc_lo, v4, v32
	s_mov_b32 s15, s12
	s_mov_b32 s13, s12
	;; [unrolled: 1-line block ×3, first 2 shown]
	v_mov_b32_e32 v6, 33
	v_mov_b32_e32 v8, v7
	;; [unrolled: 1-line block ×3, first 2 shown]
	v_readfirstlane_b32 s10, v4
	v_readfirstlane_b32 s11, v5
	v_mov_b32_e32 v17, s15
	v_add_co_ci_u32_e32 v13, vcc_lo, 0, v5, vcc_lo
	v_mov_b32_e32 v16, s14
	v_mov_b32_e32 v15, s13
	;; [unrolled: 1-line block ×3, first 2 shown]
	global_store_dwordx4 v32, v[6:9], s[10:11]
	global_store_dwordx4 v32, v[14:17], s[10:11] offset:16
	global_store_dwordx4 v32, v[14:17], s[10:11] offset:32
	;; [unrolled: 1-line block ×3, first 2 shown]
	s_and_saveexec_b32 s5, s4
	s_cbranch_execz .LBB0_16
; %bb.9:
	v_mov_b32_e32 v8, 0
	v_mov_b32_e32 v14, s8
	;; [unrolled: 1-line block ×3, first 2 shown]
	s_mov_b32 s10, exec_lo
	s_clause 0x1
	global_load_dwordx2 v[16:17], v8, s[6:7] offset:32 glc dlc
	global_load_dwordx2 v[4:5], v8, s[6:7] offset:40
	s_waitcnt vmcnt(0)
	v_and_b32_e32 v5, s9, v5
	v_and_b32_e32 v4, s8, v4
	v_mul_lo_u32 v5, v5, 24
	v_mul_hi_u32 v6, v4, 24
	v_mul_lo_u32 v4, v4, 24
	v_add_nc_u32_e32 v5, v6, v5
	v_add_co_u32 v6, vcc_lo, v2, v4
	v_add_co_ci_u32_e32 v7, vcc_lo, v3, v5, vcc_lo
	global_store_dwordx2 v[6:7], v[16:17], off
	s_waitcnt_vscnt null, 0x0
	global_atomic_cmpswap_x2 v[4:5], v8, v[14:17], s[6:7] offset:32 glc
	s_waitcnt vmcnt(0)
	v_cmpx_ne_u64_e64 v[4:5], v[16:17]
	s_cbranch_execz .LBB0_12
; %bb.10:
	s_mov_b32 s11, 0
.LBB0_11:                               ; =>This Inner Loop Header: Depth=1
	v_mov_b32_e32 v2, s8
	v_mov_b32_e32 v3, s9
	s_sleep 1
	global_store_dwordx2 v[6:7], v[4:5], off
	s_waitcnt_vscnt null, 0x0
	global_atomic_cmpswap_x2 v[2:3], v8, v[2:5], s[6:7] offset:32 glc
	s_waitcnt vmcnt(0)
	v_cmp_eq_u64_e32 vcc_lo, v[2:3], v[4:5]
	v_mov_b32_e32 v5, v3
	v_mov_b32_e32 v4, v2
	s_or_b32 s11, vcc_lo, s11
	s_andn2_b32 exec_lo, exec_lo, s11
	s_cbranch_execnz .LBB0_11
.LBB0_12:
	s_or_b32 exec_lo, exec_lo, s10
	v_mov_b32_e32 v5, 0
	s_mov_b32 s11, exec_lo
	s_mov_b32 s10, exec_lo
	v_mbcnt_lo_u32_b32 v4, s11, 0
	global_load_dwordx2 v[2:3], v5, s[6:7] offset:16
	v_cmpx_eq_u32_e32 0, v4
	s_cbranch_execz .LBB0_14
; %bb.13:
	s_bcnt1_i32_b32 s11, s11
	v_mov_b32_e32 v4, s11
	s_waitcnt vmcnt(0)
	global_atomic_add_x2 v[2:3], v[4:5], off offset:8
.LBB0_14:
	s_or_b32 exec_lo, exec_lo, s10
	s_waitcnt vmcnt(0)
	global_load_dwordx2 v[4:5], v[2:3], off offset:16
	s_waitcnt vmcnt(0)
	v_cmp_eq_u64_e32 vcc_lo, 0, v[4:5]
	s_cbranch_vccnz .LBB0_16
; %bb.15:
	global_load_dword v2, v[2:3], off offset:24
	v_mov_b32_e32 v3, 0
	s_waitcnt vmcnt(0)
	v_and_b32_e32 v6, 0x7fffff, v2
	s_waitcnt_vscnt null, 0x0
	global_store_dwordx2 v[4:5], v[2:3], off
	v_readfirstlane_b32 m0, v6
	s_sendmsg sendmsg(MSG_INTERRUPT)
.LBB0_16:
	s_or_b32 exec_lo, exec_lo, s5
	s_branch .LBB0_20
	.p2align	6
.LBB0_17:                               ;   in Loop: Header=BB0_20 Depth=1
	s_or_b32 exec_lo, exec_lo, s5
	v_readfirstlane_b32 s5, v2
	s_cmp_eq_u32 s5, 0
	s_cbranch_scc1 .LBB0_19
; %bb.18:                               ;   in Loop: Header=BB0_20 Depth=1
	s_sleep 1
	s_cbranch_execnz .LBB0_20
	s_branch .LBB0_22
	.p2align	6
.LBB0_19:
	s_branch .LBB0_22
.LBB0_20:                               ; =>This Inner Loop Header: Depth=1
	v_mov_b32_e32 v2, 1
	s_and_saveexec_b32 s5, s4
	s_cbranch_execz .LBB0_17
; %bb.21:                               ;   in Loop: Header=BB0_20 Depth=1
	global_load_dword v2, v[10:11], off offset:20 glc dlc
	s_waitcnt vmcnt(0)
	buffer_gl1_inv
	buffer_gl0_inv
	v_and_b32_e32 v2, 1, v2
	s_branch .LBB0_17
.LBB0_22:
	global_load_dwordx2 v[6:7], v[12:13], off
	s_and_saveexec_b32 s5, s4
	s_cbranch_execz .LBB0_26
; %bb.23:
	v_mov_b32_e32 v10, 0
	s_clause 0x2
	global_load_dwordx2 v[4:5], v10, s[6:7] offset:40
	global_load_dwordx2 v[11:12], v10, s[6:7] offset:24 glc dlc
	global_load_dwordx2 v[8:9], v10, s[6:7]
	s_waitcnt vmcnt(2)
	v_add_co_u32 v13, vcc_lo, v4, 1
	v_add_co_ci_u32_e32 v14, vcc_lo, 0, v5, vcc_lo
	v_add_co_u32 v2, vcc_lo, v13, s8
	v_add_co_ci_u32_e32 v3, vcc_lo, s9, v14, vcc_lo
	v_cmp_eq_u64_e32 vcc_lo, 0, v[2:3]
	v_cndmask_b32_e32 v3, v3, v14, vcc_lo
	v_cndmask_b32_e32 v2, v2, v13, vcc_lo
	v_and_b32_e32 v5, v3, v5
	v_and_b32_e32 v4, v2, v4
	v_mul_lo_u32 v5, v5, 24
	v_mul_hi_u32 v13, v4, 24
	v_mul_lo_u32 v4, v4, 24
	v_add_nc_u32_e32 v5, v13, v5
	s_waitcnt vmcnt(0)
	v_add_co_u32 v8, vcc_lo, v8, v4
	v_mov_b32_e32 v4, v11
	v_add_co_ci_u32_e32 v9, vcc_lo, v9, v5, vcc_lo
	v_mov_b32_e32 v5, v12
	global_store_dwordx2 v[8:9], v[11:12], off
	s_waitcnt_vscnt null, 0x0
	global_atomic_cmpswap_x2 v[4:5], v10, v[2:5], s[6:7] offset:24 glc
	s_waitcnt vmcnt(0)
	v_cmp_ne_u64_e32 vcc_lo, v[4:5], v[11:12]
	s_and_b32 exec_lo, exec_lo, vcc_lo
	s_cbranch_execz .LBB0_26
; %bb.24:
	s_mov_b32 s4, 0
.LBB0_25:                               ; =>This Inner Loop Header: Depth=1
	s_sleep 1
	global_store_dwordx2 v[8:9], v[4:5], off
	s_waitcnt_vscnt null, 0x0
	global_atomic_cmpswap_x2 v[11:12], v10, v[2:5], s[6:7] offset:24 glc
	s_waitcnt vmcnt(0)
	v_cmp_eq_u64_e32 vcc_lo, v[11:12], v[4:5]
	v_mov_b32_e32 v4, v11
	v_mov_b32_e32 v5, v12
	s_or_b32 s4, vcc_lo, s4
	s_andn2_b32 exec_lo, exec_lo, s4
	s_cbranch_execnz .LBB0_25
.LBB0_26:
	s_or_b32 exec_lo, exec_lo, s5
	s_getpc_b64 s[8:9]
	s_add_u32 s8, s8, .str.5@rel32@lo+4
	s_addc_u32 s9, s9, .str.5@rel32@hi+12
	s_cmp_lg_u64 s[8:9], 0
	s_cbranch_scc0 .LBB0_105
; %bb.27:
	s_waitcnt vmcnt(0)
	v_and_b32_e32 v30, 2, v6
	v_mov_b32_e32 v9, 0
	v_and_b32_e32 v2, -3, v6
	v_mov_b32_e32 v3, v7
	v_mov_b32_e32 v10, 2
	;; [unrolled: 1-line block ×3, first 2 shown]
	s_mov_b64 s[10:11], 3
	s_branch .LBB0_29
.LBB0_28:                               ;   in Loop: Header=BB0_29 Depth=1
	s_or_b32 exec_lo, exec_lo, s5
	s_sub_u32 s10, s10, s12
	s_subb_u32 s11, s11, s13
	s_add_u32 s8, s8, s12
	s_addc_u32 s9, s9, s13
	s_cmp_lg_u64 s[10:11], 0
	s_cbranch_scc0 .LBB0_104
.LBB0_29:                               ; =>This Loop Header: Depth=1
                                        ;     Child Loop BB0_38 Depth 2
                                        ;     Child Loop BB0_34 Depth 2
	;; [unrolled: 1-line block ×11, first 2 shown]
	v_cmp_lt_u64_e64 s4, s[10:11], 56
	v_cmp_gt_u64_e64 s5, s[10:11], 7
                                        ; implicit-def: $vgpr4_vgpr5
                                        ; implicit-def: $sgpr18
	s_and_b32 s4, s4, exec_lo
	s_cselect_b32 s13, s11, 0
	s_cselect_b32 s12, s10, 56
	s_and_b32 vcc_lo, exec_lo, s5
	s_mov_b32 s4, -1
	s_cbranch_vccz .LBB0_36
; %bb.30:                               ;   in Loop: Header=BB0_29 Depth=1
	s_andn2_b32 vcc_lo, exec_lo, s4
	s_mov_b64 s[4:5], s[8:9]
	s_cbranch_vccz .LBB0_40
.LBB0_31:                               ;   in Loop: Header=BB0_29 Depth=1
	s_cmp_gt_u32 s18, 7
	s_cbranch_scc1 .LBB0_41
.LBB0_32:                               ;   in Loop: Header=BB0_29 Depth=1
	v_mov_b32_e32 v12, 0
	v_mov_b32_e32 v13, 0
	s_cmp_eq_u32 s18, 0
	s_cbranch_scc1 .LBB0_35
; %bb.33:                               ;   in Loop: Header=BB0_29 Depth=1
	s_mov_b64 s[14:15], 0
	s_mov_b64 s[16:17], 0
.LBB0_34:                               ;   Parent Loop BB0_29 Depth=1
                                        ; =>  This Inner Loop Header: Depth=2
	s_add_u32 s20, s4, s16
	s_addc_u32 s21, s5, s17
	s_add_u32 s16, s16, 1
	global_load_ubyte v8, v9, s[20:21]
	s_addc_u32 s17, s17, 0
	s_waitcnt vmcnt(0)
	v_and_b32_e32 v8, 0xffff, v8
	v_lshlrev_b64 v[14:15], s14, v[8:9]
	s_add_u32 s14, s14, 8
	s_addc_u32 s15, s15, 0
	s_cmp_lg_u32 s18, s16
	v_or_b32_e32 v12, v14, v12
	v_or_b32_e32 v13, v15, v13
	s_cbranch_scc1 .LBB0_34
.LBB0_35:                               ;   in Loop: Header=BB0_29 Depth=1
	s_mov_b32 s19, 0
	s_cbranch_execz .LBB0_42
	s_branch .LBB0_43
.LBB0_36:                               ;   in Loop: Header=BB0_29 Depth=1
	s_waitcnt vmcnt(0)
	v_mov_b32_e32 v4, 0
	v_mov_b32_e32 v5, 0
	s_cmp_eq_u64 s[10:11], 0
	s_mov_b64 s[4:5], 0
	s_cbranch_scc1 .LBB0_39
; %bb.37:                               ;   in Loop: Header=BB0_29 Depth=1
	v_mov_b32_e32 v4, 0
	v_mov_b32_e32 v5, 0
	s_lshl_b64 s[14:15], s[12:13], 3
	s_mov_b64 s[16:17], s[8:9]
.LBB0_38:                               ;   Parent Loop BB0_29 Depth=1
                                        ; =>  This Inner Loop Header: Depth=2
	global_load_ubyte v8, v9, s[16:17]
	s_waitcnt vmcnt(0)
	v_and_b32_e32 v8, 0xffff, v8
	v_lshlrev_b64 v[12:13], s4, v[8:9]
	s_add_u32 s4, s4, 8
	s_addc_u32 s5, s5, 0
	s_add_u32 s16, s16, 1
	s_addc_u32 s17, s17, 0
	s_cmp_lg_u32 s14, s4
	v_or_b32_e32 v4, v12, v4
	v_or_b32_e32 v5, v13, v5
	s_cbranch_scc1 .LBB0_38
.LBB0_39:                               ;   in Loop: Header=BB0_29 Depth=1
	s_mov_b32 s18, 0
	s_mov_b64 s[4:5], s[8:9]
	s_cbranch_execnz .LBB0_31
.LBB0_40:                               ;   in Loop: Header=BB0_29 Depth=1
	global_load_dwordx2 v[4:5], v9, s[8:9]
	s_add_i32 s18, s12, -8
	s_add_u32 s4, s8, 8
	s_addc_u32 s5, s9, 0
	s_cmp_gt_u32 s18, 7
	s_cbranch_scc0 .LBB0_32
.LBB0_41:                               ;   in Loop: Header=BB0_29 Depth=1
                                        ; implicit-def: $vgpr12_vgpr13
                                        ; implicit-def: $sgpr19
.LBB0_42:                               ;   in Loop: Header=BB0_29 Depth=1
	global_load_dwordx2 v[12:13], v9, s[4:5]
	s_add_i32 s19, s18, -8
	s_add_u32 s4, s4, 8
	s_addc_u32 s5, s5, 0
.LBB0_43:                               ;   in Loop: Header=BB0_29 Depth=1
	s_cmp_gt_u32 s19, 7
	s_cbranch_scc1 .LBB0_48
; %bb.44:                               ;   in Loop: Header=BB0_29 Depth=1
	v_mov_b32_e32 v14, 0
	v_mov_b32_e32 v15, 0
	s_cmp_eq_u32 s19, 0
	s_cbranch_scc1 .LBB0_47
; %bb.45:                               ;   in Loop: Header=BB0_29 Depth=1
	s_mov_b64 s[14:15], 0
	s_mov_b64 s[16:17], 0
.LBB0_46:                               ;   Parent Loop BB0_29 Depth=1
                                        ; =>  This Inner Loop Header: Depth=2
	s_add_u32 s20, s4, s16
	s_addc_u32 s21, s5, s17
	s_add_u32 s16, s16, 1
	global_load_ubyte v8, v9, s[20:21]
	s_addc_u32 s17, s17, 0
	s_waitcnt vmcnt(0)
	v_and_b32_e32 v8, 0xffff, v8
	v_lshlrev_b64 v[16:17], s14, v[8:9]
	s_add_u32 s14, s14, 8
	s_addc_u32 s15, s15, 0
	s_cmp_lg_u32 s19, s16
	v_or_b32_e32 v14, v16, v14
	v_or_b32_e32 v15, v17, v15
	s_cbranch_scc1 .LBB0_46
.LBB0_47:                               ;   in Loop: Header=BB0_29 Depth=1
	s_mov_b32 s18, 0
	s_cbranch_execz .LBB0_49
	s_branch .LBB0_50
.LBB0_48:                               ;   in Loop: Header=BB0_29 Depth=1
                                        ; implicit-def: $sgpr18
.LBB0_49:                               ;   in Loop: Header=BB0_29 Depth=1
	global_load_dwordx2 v[14:15], v9, s[4:5]
	s_add_i32 s18, s19, -8
	s_add_u32 s4, s4, 8
	s_addc_u32 s5, s5, 0
.LBB0_50:                               ;   in Loop: Header=BB0_29 Depth=1
	s_cmp_gt_u32 s18, 7
	s_cbranch_scc1 .LBB0_55
; %bb.51:                               ;   in Loop: Header=BB0_29 Depth=1
	v_mov_b32_e32 v16, 0
	v_mov_b32_e32 v17, 0
	s_cmp_eq_u32 s18, 0
	s_cbranch_scc1 .LBB0_54
; %bb.52:                               ;   in Loop: Header=BB0_29 Depth=1
	s_mov_b64 s[14:15], 0
	s_mov_b64 s[16:17], 0
.LBB0_53:                               ;   Parent Loop BB0_29 Depth=1
                                        ; =>  This Inner Loop Header: Depth=2
	s_add_u32 s20, s4, s16
	s_addc_u32 s21, s5, s17
	s_add_u32 s16, s16, 1
	global_load_ubyte v8, v9, s[20:21]
	s_addc_u32 s17, s17, 0
	s_waitcnt vmcnt(0)
	v_and_b32_e32 v8, 0xffff, v8
	v_lshlrev_b64 v[18:19], s14, v[8:9]
	s_add_u32 s14, s14, 8
	s_addc_u32 s15, s15, 0
	s_cmp_lg_u32 s18, s16
	v_or_b32_e32 v16, v18, v16
	v_or_b32_e32 v17, v19, v17
	s_cbranch_scc1 .LBB0_53
.LBB0_54:                               ;   in Loop: Header=BB0_29 Depth=1
	s_mov_b32 s19, 0
	s_cbranch_execz .LBB0_56
	s_branch .LBB0_57
.LBB0_55:                               ;   in Loop: Header=BB0_29 Depth=1
                                        ; implicit-def: $vgpr16_vgpr17
                                        ; implicit-def: $sgpr19
.LBB0_56:                               ;   in Loop: Header=BB0_29 Depth=1
	global_load_dwordx2 v[16:17], v9, s[4:5]
	s_add_i32 s19, s18, -8
	s_add_u32 s4, s4, 8
	s_addc_u32 s5, s5, 0
.LBB0_57:                               ;   in Loop: Header=BB0_29 Depth=1
	s_cmp_gt_u32 s19, 7
	s_cbranch_scc1 .LBB0_62
; %bb.58:                               ;   in Loop: Header=BB0_29 Depth=1
	v_mov_b32_e32 v18, 0
	v_mov_b32_e32 v19, 0
	s_cmp_eq_u32 s19, 0
	s_cbranch_scc1 .LBB0_61
; %bb.59:                               ;   in Loop: Header=BB0_29 Depth=1
	s_mov_b64 s[14:15], 0
	s_mov_b64 s[16:17], 0
.LBB0_60:                               ;   Parent Loop BB0_29 Depth=1
                                        ; =>  This Inner Loop Header: Depth=2
	s_add_u32 s20, s4, s16
	s_addc_u32 s21, s5, s17
	s_add_u32 s16, s16, 1
	global_load_ubyte v8, v9, s[20:21]
	s_addc_u32 s17, s17, 0
	s_waitcnt vmcnt(0)
	v_and_b32_e32 v8, 0xffff, v8
	v_lshlrev_b64 v[20:21], s14, v[8:9]
	s_add_u32 s14, s14, 8
	s_addc_u32 s15, s15, 0
	s_cmp_lg_u32 s19, s16
	v_or_b32_e32 v18, v20, v18
	v_or_b32_e32 v19, v21, v19
	s_cbranch_scc1 .LBB0_60
.LBB0_61:                               ;   in Loop: Header=BB0_29 Depth=1
	s_mov_b32 s18, 0
	s_cbranch_execz .LBB0_63
	s_branch .LBB0_64
.LBB0_62:                               ;   in Loop: Header=BB0_29 Depth=1
                                        ; implicit-def: $sgpr18
.LBB0_63:                               ;   in Loop: Header=BB0_29 Depth=1
	global_load_dwordx2 v[18:19], v9, s[4:5]
	s_add_i32 s18, s19, -8
	s_add_u32 s4, s4, 8
	s_addc_u32 s5, s5, 0
.LBB0_64:                               ;   in Loop: Header=BB0_29 Depth=1
	s_cmp_gt_u32 s18, 7
	s_cbranch_scc1 .LBB0_69
; %bb.65:                               ;   in Loop: Header=BB0_29 Depth=1
	v_mov_b32_e32 v20, 0
	v_mov_b32_e32 v21, 0
	s_cmp_eq_u32 s18, 0
	s_cbranch_scc1 .LBB0_68
; %bb.66:                               ;   in Loop: Header=BB0_29 Depth=1
	s_mov_b64 s[14:15], 0
	s_mov_b64 s[16:17], 0
.LBB0_67:                               ;   Parent Loop BB0_29 Depth=1
                                        ; =>  This Inner Loop Header: Depth=2
	s_add_u32 s20, s4, s16
	s_addc_u32 s21, s5, s17
	s_add_u32 s16, s16, 1
	global_load_ubyte v8, v9, s[20:21]
	s_addc_u32 s17, s17, 0
	s_waitcnt vmcnt(0)
	v_and_b32_e32 v8, 0xffff, v8
	v_lshlrev_b64 v[22:23], s14, v[8:9]
	s_add_u32 s14, s14, 8
	s_addc_u32 s15, s15, 0
	s_cmp_lg_u32 s18, s16
	v_or_b32_e32 v20, v22, v20
	v_or_b32_e32 v21, v23, v21
	s_cbranch_scc1 .LBB0_67
.LBB0_68:                               ;   in Loop: Header=BB0_29 Depth=1
	s_mov_b32 s19, 0
	s_cbranch_execz .LBB0_70
	s_branch .LBB0_71
.LBB0_69:                               ;   in Loop: Header=BB0_29 Depth=1
                                        ; implicit-def: $vgpr20_vgpr21
                                        ; implicit-def: $sgpr19
.LBB0_70:                               ;   in Loop: Header=BB0_29 Depth=1
	global_load_dwordx2 v[20:21], v9, s[4:5]
	s_add_i32 s19, s18, -8
	s_add_u32 s4, s4, 8
	s_addc_u32 s5, s5, 0
.LBB0_71:                               ;   in Loop: Header=BB0_29 Depth=1
	s_cmp_gt_u32 s19, 7
	s_cbranch_scc1 .LBB0_76
; %bb.72:                               ;   in Loop: Header=BB0_29 Depth=1
	v_mov_b32_e32 v22, 0
	v_mov_b32_e32 v23, 0
	s_cmp_eq_u32 s19, 0
	s_cbranch_scc1 .LBB0_75
; %bb.73:                               ;   in Loop: Header=BB0_29 Depth=1
	s_mov_b64 s[14:15], 0
	s_mov_b64 s[16:17], s[4:5]
.LBB0_74:                               ;   Parent Loop BB0_29 Depth=1
                                        ; =>  This Inner Loop Header: Depth=2
	global_load_ubyte v8, v9, s[16:17]
	s_add_i32 s19, s19, -1
	s_waitcnt vmcnt(0)
	v_and_b32_e32 v8, 0xffff, v8
	v_lshlrev_b64 v[24:25], s14, v[8:9]
	s_add_u32 s14, s14, 8
	s_addc_u32 s15, s15, 0
	s_add_u32 s16, s16, 1
	s_addc_u32 s17, s17, 0
	s_cmp_lg_u32 s19, 0
	v_or_b32_e32 v22, v24, v22
	v_or_b32_e32 v23, v25, v23
	s_cbranch_scc1 .LBB0_74
.LBB0_75:                               ;   in Loop: Header=BB0_29 Depth=1
	s_cbranch_execz .LBB0_77
	s_branch .LBB0_78
.LBB0_76:                               ;   in Loop: Header=BB0_29 Depth=1
.LBB0_77:                               ;   in Loop: Header=BB0_29 Depth=1
	global_load_dwordx2 v[22:23], v9, s[4:5]
.LBB0_78:                               ;   in Loop: Header=BB0_29 Depth=1
	v_readfirstlane_b32 s4, v33
	v_mov_b32_e32 v28, 0
	v_mov_b32_e32 v29, 0
	v_cmp_eq_u32_e64 s4, s4, v33
	s_and_saveexec_b32 s5, s4
	s_cbranch_execz .LBB0_84
; %bb.79:                               ;   in Loop: Header=BB0_29 Depth=1
	global_load_dwordx2 v[26:27], v9, s[6:7] offset:24 glc dlc
	s_waitcnt vmcnt(0)
	buffer_gl1_inv
	buffer_gl0_inv
	s_clause 0x1
	global_load_dwordx2 v[24:25], v9, s[6:7] offset:40
	global_load_dwordx2 v[28:29], v9, s[6:7]
	s_mov_b32 s14, exec_lo
	s_waitcnt vmcnt(1)
	v_and_b32_e32 v8, v25, v27
	v_and_b32_e32 v24, v24, v26
	v_mul_lo_u32 v8, v8, 24
	v_mul_hi_u32 v25, v24, 24
	v_mul_lo_u32 v24, v24, 24
	v_add_nc_u32_e32 v8, v25, v8
	s_waitcnt vmcnt(0)
	v_add_co_u32 v24, vcc_lo, v28, v24
	v_add_co_ci_u32_e32 v25, vcc_lo, v29, v8, vcc_lo
	global_load_dwordx2 v[24:25], v[24:25], off glc dlc
	s_waitcnt vmcnt(0)
	global_atomic_cmpswap_x2 v[28:29], v9, v[24:27], s[6:7] offset:24 glc
	s_waitcnt vmcnt(0)
	buffer_gl1_inv
	buffer_gl0_inv
	v_cmpx_ne_u64_e64 v[28:29], v[26:27]
	s_cbranch_execz .LBB0_83
; %bb.80:                               ;   in Loop: Header=BB0_29 Depth=1
	s_mov_b32 s15, 0
	.p2align	6
.LBB0_81:                               ;   Parent Loop BB0_29 Depth=1
                                        ; =>  This Inner Loop Header: Depth=2
	s_sleep 1
	s_clause 0x1
	global_load_dwordx2 v[24:25], v9, s[6:7] offset:40
	global_load_dwordx2 v[34:35], v9, s[6:7]
	v_mov_b32_e32 v26, v28
	v_mov_b32_e32 v27, v29
	s_waitcnt vmcnt(1)
	v_and_b32_e32 v8, v24, v26
	v_and_b32_e32 v24, v25, v27
	s_waitcnt vmcnt(0)
	v_mad_u64_u32 v[28:29], null, v8, 24, v[34:35]
	v_mov_b32_e32 v8, v29
	v_mad_u64_u32 v[24:25], null, v24, 24, v[8:9]
	v_mov_b32_e32 v29, v24
	global_load_dwordx2 v[24:25], v[28:29], off glc dlc
	s_waitcnt vmcnt(0)
	global_atomic_cmpswap_x2 v[28:29], v9, v[24:27], s[6:7] offset:24 glc
	s_waitcnt vmcnt(0)
	buffer_gl1_inv
	buffer_gl0_inv
	v_cmp_eq_u64_e32 vcc_lo, v[28:29], v[26:27]
	s_or_b32 s15, vcc_lo, s15
	s_andn2_b32 exec_lo, exec_lo, s15
	s_cbranch_execnz .LBB0_81
; %bb.82:                               ;   in Loop: Header=BB0_29 Depth=1
	s_or_b32 exec_lo, exec_lo, s15
.LBB0_83:                               ;   in Loop: Header=BB0_29 Depth=1
	s_or_b32 exec_lo, exec_lo, s14
.LBB0_84:                               ;   in Loop: Header=BB0_29 Depth=1
	s_or_b32 exec_lo, exec_lo, s5
	s_clause 0x1
	global_load_dwordx2 v[34:35], v9, s[6:7] offset:40
	global_load_dwordx4 v[24:27], v9, s[6:7]
	v_readfirstlane_b32 s14, v28
	v_readfirstlane_b32 s15, v29
	s_mov_b32 s5, exec_lo
	s_waitcnt vmcnt(1)
	v_readfirstlane_b32 s16, v34
	v_readfirstlane_b32 s17, v35
	s_and_b64 s[16:17], s[14:15], s[16:17]
	s_mul_i32 s18, s17, 24
	s_mul_hi_u32 s19, s16, 24
	s_mul_i32 s20, s16, 24
	s_add_i32 s19, s19, s18
	s_waitcnt vmcnt(0)
	v_add_co_u32 v28, vcc_lo, v24, s20
	v_add_co_ci_u32_e32 v29, vcc_lo, s19, v25, vcc_lo
	s_and_saveexec_b32 s18, s4
	s_cbranch_execz .LBB0_86
; %bb.85:                               ;   in Loop: Header=BB0_29 Depth=1
	v_mov_b32_e32 v8, s5
	global_store_dwordx4 v[28:29], v[8:11], off offset:8
.LBB0_86:                               ;   in Loop: Header=BB0_29 Depth=1
	s_or_b32 exec_lo, exec_lo, s18
	s_lshl_b64 s[16:17], s[16:17], 12
	v_cmp_gt_u64_e64 vcc_lo, s[10:11], 56
	v_or_b32_e32 v31, v2, v30
	v_add_co_u32 v26, s5, v26, s16
	v_add_co_ci_u32_e64 v27, s5, s17, v27, s5
	s_lshl_b32 s5, s12, 2
	v_or_b32_e32 v8, 0, v3
	v_cndmask_b32_e32 v2, v31, v2, vcc_lo
	s_add_i32 s5, s5, 28
	v_readfirstlane_b32 s16, v26
	s_and_b32 s5, s5, 0x1e0
	v_cndmask_b32_e32 v3, v8, v3, vcc_lo
	v_readfirstlane_b32 s17, v27
	v_and_or_b32 v2, 0xffffff1f, v2, s5
	global_store_dwordx4 v32, v[2:5], s[16:17]
	global_store_dwordx4 v32, v[12:15], s[16:17] offset:16
	global_store_dwordx4 v32, v[16:19], s[16:17] offset:32
	;; [unrolled: 1-line block ×3, first 2 shown]
	s_and_saveexec_b32 s5, s4
	s_cbranch_execz .LBB0_94
; %bb.87:                               ;   in Loop: Header=BB0_29 Depth=1
	s_clause 0x1
	global_load_dwordx2 v[16:17], v9, s[6:7] offset:32 glc dlc
	global_load_dwordx2 v[2:3], v9, s[6:7] offset:40
	v_mov_b32_e32 v14, s14
	v_mov_b32_e32 v15, s15
	s_waitcnt vmcnt(0)
	v_readfirstlane_b32 s16, v2
	v_readfirstlane_b32 s17, v3
	s_and_b64 s[16:17], s[16:17], s[14:15]
	s_mul_i32 s17, s17, 24
	s_mul_hi_u32 s18, s16, 24
	s_mul_i32 s16, s16, 24
	s_add_i32 s18, s18, s17
	v_add_co_u32 v12, vcc_lo, v24, s16
	v_add_co_ci_u32_e32 v13, vcc_lo, s18, v25, vcc_lo
	s_mov_b32 s16, exec_lo
	global_store_dwordx2 v[12:13], v[16:17], off
	s_waitcnt_vscnt null, 0x0
	global_atomic_cmpswap_x2 v[4:5], v9, v[14:17], s[6:7] offset:32 glc
	s_waitcnt vmcnt(0)
	v_cmpx_ne_u64_e64 v[4:5], v[16:17]
	s_cbranch_execz .LBB0_90
; %bb.88:                               ;   in Loop: Header=BB0_29 Depth=1
	s_mov_b32 s17, 0
.LBB0_89:                               ;   Parent Loop BB0_29 Depth=1
                                        ; =>  This Inner Loop Header: Depth=2
	v_mov_b32_e32 v2, s14
	v_mov_b32_e32 v3, s15
	s_sleep 1
	global_store_dwordx2 v[12:13], v[4:5], off
	s_waitcnt_vscnt null, 0x0
	global_atomic_cmpswap_x2 v[2:3], v9, v[2:5], s[6:7] offset:32 glc
	s_waitcnt vmcnt(0)
	v_cmp_eq_u64_e32 vcc_lo, v[2:3], v[4:5]
	v_mov_b32_e32 v5, v3
	v_mov_b32_e32 v4, v2
	s_or_b32 s17, vcc_lo, s17
	s_andn2_b32 exec_lo, exec_lo, s17
	s_cbranch_execnz .LBB0_89
.LBB0_90:                               ;   in Loop: Header=BB0_29 Depth=1
	s_or_b32 exec_lo, exec_lo, s16
	global_load_dwordx2 v[2:3], v9, s[6:7] offset:16
	s_mov_b32 s17, exec_lo
	s_mov_b32 s16, exec_lo
	v_mbcnt_lo_u32_b32 v4, s17, 0
	v_cmpx_eq_u32_e32 0, v4
	s_cbranch_execz .LBB0_92
; %bb.91:                               ;   in Loop: Header=BB0_29 Depth=1
	s_bcnt1_i32_b32 s17, s17
	v_mov_b32_e32 v8, s17
	s_waitcnt vmcnt(0)
	global_atomic_add_x2 v[2:3], v[8:9], off offset:8
.LBB0_92:                               ;   in Loop: Header=BB0_29 Depth=1
	s_or_b32 exec_lo, exec_lo, s16
	s_waitcnt vmcnt(0)
	global_load_dwordx2 v[4:5], v[2:3], off offset:16
	s_waitcnt vmcnt(0)
	v_cmp_eq_u64_e32 vcc_lo, 0, v[4:5]
	s_cbranch_vccnz .LBB0_94
; %bb.93:                               ;   in Loop: Header=BB0_29 Depth=1
	global_load_dword v8, v[2:3], off offset:24
	s_waitcnt vmcnt(0)
	v_and_b32_e32 v2, 0x7fffff, v8
	s_waitcnt_vscnt null, 0x0
	global_store_dwordx2 v[4:5], v[8:9], off
	v_readfirstlane_b32 m0, v2
	s_sendmsg sendmsg(MSG_INTERRUPT)
.LBB0_94:                               ;   in Loop: Header=BB0_29 Depth=1
	s_or_b32 exec_lo, exec_lo, s5
	v_add_co_u32 v2, vcc_lo, v26, v32
	v_add_co_ci_u32_e32 v3, vcc_lo, 0, v27, vcc_lo
	s_branch .LBB0_98
	.p2align	6
.LBB0_95:                               ;   in Loop: Header=BB0_98 Depth=2
	s_or_b32 exec_lo, exec_lo, s5
	v_readfirstlane_b32 s5, v4
	s_cmp_eq_u32 s5, 0
	s_cbranch_scc1 .LBB0_97
; %bb.96:                               ;   in Loop: Header=BB0_98 Depth=2
	s_sleep 1
	s_cbranch_execnz .LBB0_98
	s_branch .LBB0_100
	.p2align	6
.LBB0_97:                               ;   in Loop: Header=BB0_29 Depth=1
	s_branch .LBB0_100
.LBB0_98:                               ;   Parent Loop BB0_29 Depth=1
                                        ; =>  This Inner Loop Header: Depth=2
	v_mov_b32_e32 v4, 1
	s_and_saveexec_b32 s5, s4
	s_cbranch_execz .LBB0_95
; %bb.99:                               ;   in Loop: Header=BB0_98 Depth=2
	global_load_dword v4, v[28:29], off offset:20 glc dlc
	s_waitcnt vmcnt(0)
	buffer_gl1_inv
	buffer_gl0_inv
	v_and_b32_e32 v4, 1, v4
	s_branch .LBB0_95
.LBB0_100:                              ;   in Loop: Header=BB0_29 Depth=1
	global_load_dwordx4 v[2:5], v[2:3], off
	s_and_saveexec_b32 s5, s4
	s_cbranch_execz .LBB0_28
; %bb.101:                              ;   in Loop: Header=BB0_29 Depth=1
	s_clause 0x2
	global_load_dwordx2 v[4:5], v9, s[6:7] offset:40
	global_load_dwordx2 v[16:17], v9, s[6:7] offset:24 glc dlc
	global_load_dwordx2 v[14:15], v9, s[6:7]
	s_waitcnt vmcnt(2)
	v_add_co_u32 v8, vcc_lo, v4, 1
	v_add_co_ci_u32_e32 v18, vcc_lo, 0, v5, vcc_lo
	v_add_co_u32 v12, vcc_lo, v8, s14
	v_add_co_ci_u32_e32 v13, vcc_lo, s15, v18, vcc_lo
	v_cmp_eq_u64_e32 vcc_lo, 0, v[12:13]
	v_cndmask_b32_e32 v13, v13, v18, vcc_lo
	v_cndmask_b32_e32 v12, v12, v8, vcc_lo
	v_and_b32_e32 v5, v13, v5
	v_and_b32_e32 v4, v12, v4
	v_mul_lo_u32 v5, v5, 24
	v_mul_hi_u32 v8, v4, 24
	v_mul_lo_u32 v4, v4, 24
	v_add_nc_u32_e32 v5, v8, v5
	s_waitcnt vmcnt(0)
	v_add_co_u32 v4, vcc_lo, v14, v4
	v_mov_b32_e32 v14, v16
	v_add_co_ci_u32_e32 v5, vcc_lo, v15, v5, vcc_lo
	v_mov_b32_e32 v15, v17
	global_store_dwordx2 v[4:5], v[16:17], off
	s_waitcnt_vscnt null, 0x0
	global_atomic_cmpswap_x2 v[14:15], v9, v[12:15], s[6:7] offset:24 glc
	s_waitcnt vmcnt(0)
	v_cmp_ne_u64_e32 vcc_lo, v[14:15], v[16:17]
	s_and_b32 exec_lo, exec_lo, vcc_lo
	s_cbranch_execz .LBB0_28
; %bb.102:                              ;   in Loop: Header=BB0_29 Depth=1
	s_mov_b32 s4, 0
.LBB0_103:                              ;   Parent Loop BB0_29 Depth=1
                                        ; =>  This Inner Loop Header: Depth=2
	s_sleep 1
	global_store_dwordx2 v[4:5], v[14:15], off
	s_waitcnt_vscnt null, 0x0
	global_atomic_cmpswap_x2 v[16:17], v9, v[12:15], s[6:7] offset:24 glc
	s_waitcnt vmcnt(0)
	v_cmp_eq_u64_e32 vcc_lo, v[16:17], v[14:15]
	v_mov_b32_e32 v14, v16
	v_mov_b32_e32 v15, v17
	s_or_b32 s4, vcc_lo, s4
	s_andn2_b32 exec_lo, exec_lo, s4
	s_cbranch_execnz .LBB0_103
	s_branch .LBB0_28
.LBB0_104:
	s_branch .LBB0_133
.LBB0_105:
                                        ; implicit-def: $vgpr2_vgpr3
	s_cbranch_execz .LBB0_133
; %bb.106:
	v_readfirstlane_b32 s4, v33
	v_mov_b32_e32 v9, 0
	v_mov_b32_e32 v10, 0
	v_cmp_eq_u32_e64 s4, s4, v33
	s_and_saveexec_b32 s5, s4
	s_cbranch_execz .LBB0_112
; %bb.107:
	s_waitcnt vmcnt(0)
	v_mov_b32_e32 v2, 0
	s_mov_b32 s8, exec_lo
	global_load_dwordx2 v[11:12], v2, s[6:7] offset:24 glc dlc
	s_waitcnt vmcnt(0)
	buffer_gl1_inv
	buffer_gl0_inv
	s_clause 0x1
	global_load_dwordx2 v[3:4], v2, s[6:7] offset:40
	global_load_dwordx2 v[8:9], v2, s[6:7]
	s_waitcnt vmcnt(1)
	v_and_b32_e32 v4, v4, v12
	v_and_b32_e32 v3, v3, v11
	v_mul_lo_u32 v4, v4, 24
	v_mul_hi_u32 v5, v3, 24
	v_mul_lo_u32 v3, v3, 24
	v_add_nc_u32_e32 v4, v5, v4
	s_waitcnt vmcnt(0)
	v_add_co_u32 v3, vcc_lo, v8, v3
	v_add_co_ci_u32_e32 v4, vcc_lo, v9, v4, vcc_lo
	global_load_dwordx2 v[9:10], v[3:4], off glc dlc
	s_waitcnt vmcnt(0)
	global_atomic_cmpswap_x2 v[9:10], v2, v[9:12], s[6:7] offset:24 glc
	s_waitcnt vmcnt(0)
	buffer_gl1_inv
	buffer_gl0_inv
	v_cmpx_ne_u64_e64 v[9:10], v[11:12]
	s_cbranch_execz .LBB0_111
; %bb.108:
	s_mov_b32 s9, 0
	.p2align	6
.LBB0_109:                              ; =>This Inner Loop Header: Depth=1
	s_sleep 1
	s_clause 0x1
	global_load_dwordx2 v[3:4], v2, s[6:7] offset:40
	global_load_dwordx2 v[13:14], v2, s[6:7]
	v_mov_b32_e32 v12, v10
	v_mov_b32_e32 v11, v9
	s_waitcnt vmcnt(1)
	v_and_b32_e32 v3, v3, v11
	v_and_b32_e32 v4, v4, v12
	s_waitcnt vmcnt(0)
	v_mad_u64_u32 v[8:9], null, v3, 24, v[13:14]
	v_mov_b32_e32 v3, v9
	v_mad_u64_u32 v[3:4], null, v4, 24, v[3:4]
	v_mov_b32_e32 v9, v3
	global_load_dwordx2 v[9:10], v[8:9], off glc dlc
	s_waitcnt vmcnt(0)
	global_atomic_cmpswap_x2 v[9:10], v2, v[9:12], s[6:7] offset:24 glc
	s_waitcnt vmcnt(0)
	buffer_gl1_inv
	buffer_gl0_inv
	v_cmp_eq_u64_e32 vcc_lo, v[9:10], v[11:12]
	s_or_b32 s9, vcc_lo, s9
	s_andn2_b32 exec_lo, exec_lo, s9
	s_cbranch_execnz .LBB0_109
; %bb.110:
	s_or_b32 exec_lo, exec_lo, s9
.LBB0_111:
	s_or_b32 exec_lo, exec_lo, s8
.LBB0_112:
	s_or_b32 exec_lo, exec_lo, s5
	v_mov_b32_e32 v8, 0
	v_readfirstlane_b32 s8, v9
	v_readfirstlane_b32 s9, v10
	s_mov_b32 s5, exec_lo
	s_clause 0x1
	global_load_dwordx2 v[11:12], v8, s[6:7] offset:40
	global_load_dwordx4 v[2:5], v8, s[6:7]
	s_waitcnt vmcnt(1)
	v_readfirstlane_b32 s10, v11
	v_readfirstlane_b32 s11, v12
	s_and_b64 s[10:11], s[8:9], s[10:11]
	s_mul_i32 s12, s11, 24
	s_mul_hi_u32 s13, s10, 24
	s_mul_i32 s14, s10, 24
	s_add_i32 s13, s13, s12
	s_waitcnt vmcnt(0)
	v_add_co_u32 v10, vcc_lo, v2, s14
	v_add_co_ci_u32_e32 v11, vcc_lo, s13, v3, vcc_lo
	s_and_saveexec_b32 s12, s4
	s_cbranch_execz .LBB0_114
; %bb.113:
	v_mov_b32_e32 v12, s5
	v_mov_b32_e32 v13, v8
	;; [unrolled: 1-line block ×4, first 2 shown]
	global_store_dwordx4 v[10:11], v[12:15], off offset:8
.LBB0_114:
	s_or_b32 exec_lo, exec_lo, s12
	s_lshl_b64 s[10:11], s[10:11], 12
	s_mov_b32 s12, 0
	v_add_co_u32 v4, vcc_lo, v4, s10
	v_add_co_ci_u32_e32 v5, vcc_lo, s11, v5, vcc_lo
	s_mov_b32 s15, s12
	v_add_co_u32 v12, vcc_lo, v4, v32
	s_mov_b32 s13, s12
	s_mov_b32 s14, s12
	v_and_or_b32 v6, 0xffffff1f, v6, 32
	v_mov_b32_e32 v9, v8
	v_readfirstlane_b32 s10, v4
	v_readfirstlane_b32 s11, v5
	v_mov_b32_e32 v17, s15
	v_add_co_ci_u32_e32 v13, vcc_lo, 0, v5, vcc_lo
	v_mov_b32_e32 v16, s14
	v_mov_b32_e32 v15, s13
	;; [unrolled: 1-line block ×3, first 2 shown]
	global_store_dwordx4 v32, v[6:9], s[10:11]
	global_store_dwordx4 v32, v[14:17], s[10:11] offset:16
	global_store_dwordx4 v32, v[14:17], s[10:11] offset:32
	;; [unrolled: 1-line block ×3, first 2 shown]
	s_and_saveexec_b32 s5, s4
	s_cbranch_execz .LBB0_122
; %bb.115:
	v_mov_b32_e32 v8, 0
	v_mov_b32_e32 v14, s8
	;; [unrolled: 1-line block ×3, first 2 shown]
	s_clause 0x1
	global_load_dwordx2 v[16:17], v8, s[6:7] offset:32 glc dlc
	global_load_dwordx2 v[4:5], v8, s[6:7] offset:40
	s_waitcnt vmcnt(0)
	v_readfirstlane_b32 s10, v4
	v_readfirstlane_b32 s11, v5
	s_and_b64 s[10:11], s[10:11], s[8:9]
	s_mul_i32 s11, s11, 24
	s_mul_hi_u32 s12, s10, 24
	s_mul_i32 s10, s10, 24
	s_add_i32 s12, s12, s11
	v_add_co_u32 v6, vcc_lo, v2, s10
	v_add_co_ci_u32_e32 v7, vcc_lo, s12, v3, vcc_lo
	s_mov_b32 s10, exec_lo
	global_store_dwordx2 v[6:7], v[16:17], off
	s_waitcnt_vscnt null, 0x0
	global_atomic_cmpswap_x2 v[4:5], v8, v[14:17], s[6:7] offset:32 glc
	s_waitcnt vmcnt(0)
	v_cmpx_ne_u64_e64 v[4:5], v[16:17]
	s_cbranch_execz .LBB0_118
; %bb.116:
	s_mov_b32 s11, 0
.LBB0_117:                              ; =>This Inner Loop Header: Depth=1
	v_mov_b32_e32 v2, s8
	v_mov_b32_e32 v3, s9
	s_sleep 1
	global_store_dwordx2 v[6:7], v[4:5], off
	s_waitcnt_vscnt null, 0x0
	global_atomic_cmpswap_x2 v[2:3], v8, v[2:5], s[6:7] offset:32 glc
	s_waitcnt vmcnt(0)
	v_cmp_eq_u64_e32 vcc_lo, v[2:3], v[4:5]
	v_mov_b32_e32 v5, v3
	v_mov_b32_e32 v4, v2
	s_or_b32 s11, vcc_lo, s11
	s_andn2_b32 exec_lo, exec_lo, s11
	s_cbranch_execnz .LBB0_117
.LBB0_118:
	s_or_b32 exec_lo, exec_lo, s10
	v_mov_b32_e32 v5, 0
	s_mov_b32 s11, exec_lo
	s_mov_b32 s10, exec_lo
	v_mbcnt_lo_u32_b32 v4, s11, 0
	global_load_dwordx2 v[2:3], v5, s[6:7] offset:16
	v_cmpx_eq_u32_e32 0, v4
	s_cbranch_execz .LBB0_120
; %bb.119:
	s_bcnt1_i32_b32 s11, s11
	v_mov_b32_e32 v4, s11
	s_waitcnt vmcnt(0)
	global_atomic_add_x2 v[2:3], v[4:5], off offset:8
.LBB0_120:
	s_or_b32 exec_lo, exec_lo, s10
	s_waitcnt vmcnt(0)
	global_load_dwordx2 v[4:5], v[2:3], off offset:16
	s_waitcnt vmcnt(0)
	v_cmp_eq_u64_e32 vcc_lo, 0, v[4:5]
	s_cbranch_vccnz .LBB0_122
; %bb.121:
	global_load_dword v2, v[2:3], off offset:24
	v_mov_b32_e32 v3, 0
	s_waitcnt vmcnt(0)
	v_and_b32_e32 v6, 0x7fffff, v2
	s_waitcnt_vscnt null, 0x0
	global_store_dwordx2 v[4:5], v[2:3], off
	v_readfirstlane_b32 m0, v6
	s_sendmsg sendmsg(MSG_INTERRUPT)
.LBB0_122:
	s_or_b32 exec_lo, exec_lo, s5
	s_branch .LBB0_126
	.p2align	6
.LBB0_123:                              ;   in Loop: Header=BB0_126 Depth=1
	s_or_b32 exec_lo, exec_lo, s5
	v_readfirstlane_b32 s5, v2
	s_cmp_eq_u32 s5, 0
	s_cbranch_scc1 .LBB0_125
; %bb.124:                              ;   in Loop: Header=BB0_126 Depth=1
	s_sleep 1
	s_cbranch_execnz .LBB0_126
	s_branch .LBB0_128
	.p2align	6
.LBB0_125:
	s_branch .LBB0_128
.LBB0_126:                              ; =>This Inner Loop Header: Depth=1
	v_mov_b32_e32 v2, 1
	s_and_saveexec_b32 s5, s4
	s_cbranch_execz .LBB0_123
; %bb.127:                              ;   in Loop: Header=BB0_126 Depth=1
	global_load_dword v2, v[10:11], off offset:20 glc dlc
	s_waitcnt vmcnt(0)
	buffer_gl1_inv
	buffer_gl0_inv
	v_and_b32_e32 v2, 1, v2
	s_branch .LBB0_123
.LBB0_128:
	global_load_dwordx2 v[2:3], v[12:13], off
	s_and_saveexec_b32 s5, s4
	s_cbranch_execz .LBB0_132
; %bb.129:
	v_mov_b32_e32 v10, 0
	s_clause 0x2
	global_load_dwordx2 v[6:7], v10, s[6:7] offset:40
	global_load_dwordx2 v[11:12], v10, s[6:7] offset:24 glc dlc
	global_load_dwordx2 v[8:9], v10, s[6:7]
	s_waitcnt vmcnt(2)
	v_add_co_u32 v13, vcc_lo, v6, 1
	v_add_co_ci_u32_e32 v14, vcc_lo, 0, v7, vcc_lo
	v_add_co_u32 v4, vcc_lo, v13, s8
	v_add_co_ci_u32_e32 v5, vcc_lo, s9, v14, vcc_lo
	v_cmp_eq_u64_e32 vcc_lo, 0, v[4:5]
	v_cndmask_b32_e32 v5, v5, v14, vcc_lo
	v_cndmask_b32_e32 v4, v4, v13, vcc_lo
	v_and_b32_e32 v7, v5, v7
	v_and_b32_e32 v6, v4, v6
	v_mul_lo_u32 v7, v7, 24
	v_mul_hi_u32 v13, v6, 24
	v_mul_lo_u32 v6, v6, 24
	v_add_nc_u32_e32 v7, v13, v7
	s_waitcnt vmcnt(0)
	v_add_co_u32 v8, vcc_lo, v8, v6
	v_mov_b32_e32 v6, v11
	v_add_co_ci_u32_e32 v9, vcc_lo, v9, v7, vcc_lo
	v_mov_b32_e32 v7, v12
	global_store_dwordx2 v[8:9], v[11:12], off
	s_waitcnt_vscnt null, 0x0
	global_atomic_cmpswap_x2 v[6:7], v10, v[4:7], s[6:7] offset:24 glc
	s_waitcnt vmcnt(0)
	v_cmp_ne_u64_e32 vcc_lo, v[6:7], v[11:12]
	s_and_b32 exec_lo, exec_lo, vcc_lo
	s_cbranch_execz .LBB0_132
; %bb.130:
	s_mov_b32 s4, 0
.LBB0_131:                              ; =>This Inner Loop Header: Depth=1
	s_sleep 1
	global_store_dwordx2 v[8:9], v[6:7], off
	s_waitcnt_vscnt null, 0x0
	global_atomic_cmpswap_x2 v[11:12], v10, v[4:7], s[6:7] offset:24 glc
	s_waitcnt vmcnt(0)
	v_cmp_eq_u64_e32 vcc_lo, v[11:12], v[6:7]
	v_mov_b32_e32 v6, v11
	v_mov_b32_e32 v7, v12
	s_or_b32 s4, vcc_lo, s4
	s_andn2_b32 exec_lo, exec_lo, s4
	s_cbranch_execnz .LBB0_131
.LBB0_132:
	s_or_b32 exec_lo, exec_lo, s5
.LBB0_133:
	v_cmp_ne_u64_e32 vcc_lo, 0, v[0:1]
	v_mov_b32_e32 v26, 0
	v_mov_b32_e32 v27, 0
	s_and_saveexec_b32 s5, vcc_lo
	s_cbranch_execnz .LBB0_158
; %bb.134:
	s_or_b32 exec_lo, exec_lo, s5
	s_and_saveexec_b32 s4, vcc_lo
	s_xor_b32 s12, exec_lo, s4
	s_cbranch_execnz .LBB0_161
.LBB0_135:
	s_andn2_saveexec_b32 s5, s12
	s_cbranch_execz .LBB0_251
.LBB0_136:
	v_readfirstlane_b32 s4, v33
	v_mov_b32_e32 v0, 0
	v_mov_b32_e32 v1, 0
	v_cmp_eq_u32_e64 s4, s4, v33
	s_and_saveexec_b32 s8, s4
	s_cbranch_execz .LBB0_142
; %bb.137:
	s_waitcnt vmcnt(0)
	v_mov_b32_e32 v4, 0
	s_mov_b32 s9, exec_lo
	global_load_dwordx2 v[7:8], v4, s[6:7] offset:24 glc dlc
	s_waitcnt vmcnt(0)
	buffer_gl1_inv
	buffer_gl0_inv
	s_clause 0x1
	global_load_dwordx2 v[0:1], v4, s[6:7] offset:40
	global_load_dwordx2 v[5:6], v4, s[6:7]
	s_waitcnt vmcnt(1)
	v_and_b32_e32 v1, v1, v8
	v_and_b32_e32 v0, v0, v7
	v_mul_lo_u32 v1, v1, 24
	v_mul_hi_u32 v9, v0, 24
	v_mul_lo_u32 v0, v0, 24
	v_add_nc_u32_e32 v1, v9, v1
	s_waitcnt vmcnt(0)
	v_add_co_u32 v0, vcc_lo, v5, v0
	v_add_co_ci_u32_e32 v1, vcc_lo, v6, v1, vcc_lo
	global_load_dwordx2 v[5:6], v[0:1], off glc dlc
	s_waitcnt vmcnt(0)
	global_atomic_cmpswap_x2 v[0:1], v4, v[5:8], s[6:7] offset:24 glc
	s_waitcnt vmcnt(0)
	buffer_gl1_inv
	buffer_gl0_inv
	v_cmpx_ne_u64_e64 v[0:1], v[7:8]
	s_cbranch_execz .LBB0_141
; %bb.138:
	s_mov_b32 s10, 0
	.p2align	6
.LBB0_139:                              ; =>This Inner Loop Header: Depth=1
	s_sleep 1
	s_clause 0x1
	global_load_dwordx2 v[5:6], v4, s[6:7] offset:40
	global_load_dwordx2 v[9:10], v4, s[6:7]
	v_mov_b32_e32 v8, v1
	v_mov_b32_e32 v7, v0
	s_waitcnt vmcnt(1)
	v_and_b32_e32 v0, v5, v7
	v_and_b32_e32 v5, v6, v8
	s_waitcnt vmcnt(0)
	v_mad_u64_u32 v[0:1], null, v0, 24, v[9:10]
	v_mad_u64_u32 v[5:6], null, v5, 24, v[1:2]
	v_mov_b32_e32 v1, v5
	global_load_dwordx2 v[5:6], v[0:1], off glc dlc
	s_waitcnt vmcnt(0)
	global_atomic_cmpswap_x2 v[0:1], v4, v[5:8], s[6:7] offset:24 glc
	s_waitcnt vmcnt(0)
	buffer_gl1_inv
	buffer_gl0_inv
	v_cmp_eq_u64_e32 vcc_lo, v[0:1], v[7:8]
	s_or_b32 s10, vcc_lo, s10
	s_andn2_b32 exec_lo, exec_lo, s10
	s_cbranch_execnz .LBB0_139
; %bb.140:
	s_or_b32 exec_lo, exec_lo, s10
.LBB0_141:
	s_or_b32 exec_lo, exec_lo, s9
.LBB0_142:
	s_or_b32 exec_lo, exec_lo, s8
	s_waitcnt vmcnt(0)
	v_mov_b32_e32 v4, 0
	v_readfirstlane_b32 s8, v0
	v_readfirstlane_b32 s9, v1
	s_mov_b32 s12, exec_lo
	s_clause 0x1
	global_load_dwordx2 v[10:11], v4, s[6:7] offset:40
	global_load_dwordx4 v[6:9], v4, s[6:7]
	s_waitcnt vmcnt(1)
	v_readfirstlane_b32 s10, v10
	v_readfirstlane_b32 s11, v11
	s_and_b64 s[10:11], s[8:9], s[10:11]
	s_mul_i32 s13, s11, 24
	s_mul_hi_u32 s14, s10, 24
	s_mul_i32 s15, s10, 24
	s_add_i32 s14, s14, s13
	s_waitcnt vmcnt(0)
	v_add_co_u32 v10, vcc_lo, v6, s15
	v_add_co_ci_u32_e32 v11, vcc_lo, s14, v7, vcc_lo
	s_and_saveexec_b32 s13, s4
	s_cbranch_execz .LBB0_144
; %bb.143:
	v_mov_b32_e32 v12, s12
	v_mov_b32_e32 v13, v4
	;; [unrolled: 1-line block ×4, first 2 shown]
	global_store_dwordx4 v[10:11], v[12:15], off offset:8
.LBB0_144:
	s_or_b32 exec_lo, exec_lo, s13
	s_lshl_b64 s[10:11], s[10:11], 12
	s_mov_b32 s12, 0
	v_add_co_u32 v0, vcc_lo, v8, s10
	v_add_co_ci_u32_e32 v1, vcc_lo, s11, v9, vcc_lo
	s_mov_b32 s13, s12
	s_mov_b32 s14, s12
	;; [unrolled: 1-line block ×3, first 2 shown]
	v_and_or_b32 v2, 0xffffff1d, v2, 34
	v_mov_b32_e32 v5, v4
	v_readfirstlane_b32 s10, v0
	v_readfirstlane_b32 s11, v1
	v_mov_b32_e32 v12, s12
	v_mov_b32_e32 v13, s13
	v_mov_b32_e32 v14, s14
	v_mov_b32_e32 v15, s15
	global_store_dwordx4 v32, v[2:5], s[10:11]
	global_store_dwordx4 v32, v[12:15], s[10:11] offset:16
	global_store_dwordx4 v32, v[12:15], s[10:11] offset:32
	;; [unrolled: 1-line block ×3, first 2 shown]
	s_and_saveexec_b32 s10, s4
	s_cbranch_execz .LBB0_152
; %bb.145:
	v_mov_b32_e32 v8, 0
	v_mov_b32_e32 v12, s8
	;; [unrolled: 1-line block ×3, first 2 shown]
	s_clause 0x1
	global_load_dwordx2 v[14:15], v8, s[6:7] offset:32 glc dlc
	global_load_dwordx2 v[0:1], v8, s[6:7] offset:40
	s_waitcnt vmcnt(0)
	v_readfirstlane_b32 s12, v0
	v_readfirstlane_b32 s13, v1
	s_and_b64 s[12:13], s[12:13], s[8:9]
	s_mul_i32 s11, s13, 24
	s_mul_hi_u32 s13, s12, 24
	s_mul_i32 s12, s12, 24
	s_add_i32 s13, s13, s11
	v_add_co_u32 v4, vcc_lo, v6, s12
	v_add_co_ci_u32_e32 v5, vcc_lo, s13, v7, vcc_lo
	s_mov_b32 s11, exec_lo
	global_store_dwordx2 v[4:5], v[14:15], off
	s_waitcnt_vscnt null, 0x0
	global_atomic_cmpswap_x2 v[2:3], v8, v[12:15], s[6:7] offset:32 glc
	s_waitcnt vmcnt(0)
	v_cmpx_ne_u64_e64 v[2:3], v[14:15]
	s_cbranch_execz .LBB0_148
; %bb.146:
	s_mov_b32 s12, 0
.LBB0_147:                              ; =>This Inner Loop Header: Depth=1
	v_mov_b32_e32 v0, s8
	v_mov_b32_e32 v1, s9
	s_sleep 1
	global_store_dwordx2 v[4:5], v[2:3], off
	s_waitcnt_vscnt null, 0x0
	global_atomic_cmpswap_x2 v[0:1], v8, v[0:3], s[6:7] offset:32 glc
	s_waitcnt vmcnt(0)
	v_cmp_eq_u64_e32 vcc_lo, v[0:1], v[2:3]
	v_mov_b32_e32 v3, v1
	v_mov_b32_e32 v2, v0
	s_or_b32 s12, vcc_lo, s12
	s_andn2_b32 exec_lo, exec_lo, s12
	s_cbranch_execnz .LBB0_147
.LBB0_148:
	s_or_b32 exec_lo, exec_lo, s11
	v_mov_b32_e32 v3, 0
	s_mov_b32 s12, exec_lo
	s_mov_b32 s11, exec_lo
	v_mbcnt_lo_u32_b32 v2, s12, 0
	global_load_dwordx2 v[0:1], v3, s[6:7] offset:16
	v_cmpx_eq_u32_e32 0, v2
	s_cbranch_execz .LBB0_150
; %bb.149:
	s_bcnt1_i32_b32 s12, s12
	v_mov_b32_e32 v2, s12
	s_waitcnt vmcnt(0)
	global_atomic_add_x2 v[0:1], v[2:3], off offset:8
.LBB0_150:
	s_or_b32 exec_lo, exec_lo, s11
	s_waitcnt vmcnt(0)
	global_load_dwordx2 v[2:3], v[0:1], off offset:16
	s_waitcnt vmcnt(0)
	v_cmp_eq_u64_e32 vcc_lo, 0, v[2:3]
	s_cbranch_vccnz .LBB0_152
; %bb.151:
	global_load_dword v0, v[0:1], off offset:24
	v_mov_b32_e32 v1, 0
	s_waitcnt vmcnt(0)
	v_and_b32_e32 v4, 0x7fffff, v0
	s_waitcnt_vscnt null, 0x0
	global_store_dwordx2 v[2:3], v[0:1], off
	v_readfirstlane_b32 m0, v4
	s_sendmsg sendmsg(MSG_INTERRUPT)
.LBB0_152:
	s_or_b32 exec_lo, exec_lo, s10
	s_branch .LBB0_156
	.p2align	6
.LBB0_153:                              ;   in Loop: Header=BB0_156 Depth=1
	s_or_b32 exec_lo, exec_lo, s10
	v_readfirstlane_b32 s10, v0
	s_cmp_eq_u32 s10, 0
	s_cbranch_scc1 .LBB0_155
; %bb.154:                              ;   in Loop: Header=BB0_156 Depth=1
	s_sleep 1
	s_cbranch_execnz .LBB0_156
	s_branch .LBB0_245
	.p2align	6
.LBB0_155:
	s_branch .LBB0_245
.LBB0_156:                              ; =>This Inner Loop Header: Depth=1
	v_mov_b32_e32 v0, 1
	s_and_saveexec_b32 s10, s4
	s_cbranch_execz .LBB0_153
; %bb.157:                              ;   in Loop: Header=BB0_156 Depth=1
	global_load_dword v0, v[10:11], off offset:20 glc dlc
	s_waitcnt vmcnt(0)
	buffer_gl1_inv
	buffer_gl0_inv
	v_and_b32_e32 v0, 1, v0
	s_branch .LBB0_153
.LBB0_158:
	s_waitcnt vmcnt(0)
	v_add_co_u32 v4, s4, v0, -1
	v_add_co_ci_u32_e64 v5, s4, -1, v1, s4
	s_mov_b32 s8, 0
.LBB0_159:                              ; =>This Inner Loop Header: Depth=1
	flat_load_ubyte v8, v[4:5] offset:1
	v_add_co_u32 v6, s4, v4, 1
	v_add_co_ci_u32_e64 v7, s4, 0, v5, s4
	v_mov_b32_e32 v4, v6
	v_mov_b32_e32 v5, v7
	s_waitcnt vmcnt(0) lgkmcnt(0)
	v_cmp_eq_u16_e64 s4, 0, v8
	s_or_b32 s8, s4, s8
	s_andn2_b32 exec_lo, exec_lo, s8
	s_cbranch_execnz .LBB0_159
; %bb.160:
	s_or_b32 exec_lo, exec_lo, s8
	v_sub_co_u32 v4, s4, v6, v0
	v_sub_co_ci_u32_e64 v5, s4, v7, v1, s4
	v_add_co_u32 v26, s4, v4, 1
	v_add_co_ci_u32_e64 v27, s4, 0, v5, s4
	s_or_b32 exec_lo, exec_lo, s5
	s_and_saveexec_b32 s4, vcc_lo
	s_xor_b32 s12, exec_lo, s4
	s_cbranch_execz .LBB0_135
.LBB0_161:
	s_waitcnt vmcnt(0)
	v_and_b32_e32 v2, -3, v2
	v_mov_b32_e32 v7, 0
	v_mov_b32_e32 v8, 2
	;; [unrolled: 1-line block ×3, first 2 shown]
	s_mov_b32 s14, 0
	s_mov_b32 s13, 0
	s_branch .LBB0_163
.LBB0_162:                              ;   in Loop: Header=BB0_163 Depth=1
	s_or_b32 exec_lo, exec_lo, s5
	v_sub_co_u32 v26, vcc_lo, v26, v28
	v_sub_co_ci_u32_e32 v27, vcc_lo, v27, v29, vcc_lo
	v_add_co_u32 v0, s4, v0, v28
	v_add_co_ci_u32_e64 v1, s4, v1, v29, s4
	v_cmp_eq_u64_e32 vcc_lo, 0, v[26:27]
	s_or_b32 s13, vcc_lo, s13
	s_andn2_b32 exec_lo, exec_lo, s13
	s_cbranch_execz .LBB0_250
.LBB0_163:                              ; =>This Loop Header: Depth=1
                                        ;     Child Loop BB0_166 Depth 2
                                        ;     Child Loop BB0_174 Depth 2
	;; [unrolled: 1-line block ×11, first 2 shown]
	v_cmp_gt_u64_e32 vcc_lo, 56, v[26:27]
	s_mov_b32 s5, exec_lo
                                        ; implicit-def: $sgpr8
	v_cndmask_b32_e32 v29, 0, v27, vcc_lo
	v_cndmask_b32_e32 v28, 56, v26, vcc_lo
	v_cmpx_gt_u64_e32 8, v[26:27]
	s_xor_b32 s5, exec_lo, s5
	s_cbranch_execz .LBB0_169
; %bb.164:                              ;   in Loop: Header=BB0_163 Depth=1
	s_waitcnt vmcnt(0)
	v_mov_b32_e32 v4, 0
	v_mov_b32_e32 v5, 0
	s_mov_b64 s[8:9], 0
	s_mov_b32 s10, exec_lo
	v_cmpx_ne_u64_e32 0, v[26:27]
	s_cbranch_execz .LBB0_168
; %bb.165:                              ;   in Loop: Header=BB0_163 Depth=1
	v_lshlrev_b64 v[10:11], 3, v[28:29]
	v_mov_b32_e32 v4, 0
	v_mov_b32_e32 v12, v1
	;; [unrolled: 1-line block ×4, first 2 shown]
	s_mov_b32 s11, 0
	.p2align	6
.LBB0_166:                              ;   Parent Loop BB0_163 Depth=1
                                        ; =>  This Inner Loop Header: Depth=2
	flat_load_ubyte v6, v[11:12]
	v_mov_b32_e32 v14, s14
	v_add_co_u32 v11, vcc_lo, v11, 1
	v_add_co_ci_u32_e32 v12, vcc_lo, 0, v12, vcc_lo
	s_waitcnt vmcnt(0) lgkmcnt(0)
	v_and_b32_e32 v13, 0xffff, v6
	v_lshlrev_b64 v[13:14], s8, v[13:14]
	s_add_u32 s8, s8, 8
	s_addc_u32 s9, s9, 0
	v_cmp_eq_u32_e64 s4, s8, v10
	v_or_b32_e32 v5, v14, v5
	v_or_b32_e32 v4, v13, v4
	s_or_b32 s11, s4, s11
	s_andn2_b32 exec_lo, exec_lo, s11
	s_cbranch_execnz .LBB0_166
; %bb.167:                              ;   in Loop: Header=BB0_163 Depth=1
	s_or_b32 exec_lo, exec_lo, s11
.LBB0_168:                              ;   in Loop: Header=BB0_163 Depth=1
	s_or_b32 exec_lo, exec_lo, s10
	s_mov_b32 s8, 0
.LBB0_169:                              ;   in Loop: Header=BB0_163 Depth=1
	s_or_saveexec_b32 s4, s5
	v_mov_b32_e32 v23, v1
	v_mov_b32_e32 v6, s8
	;; [unrolled: 1-line block ×3, first 2 shown]
	s_xor_b32 exec_lo, exec_lo, s4
	s_cbranch_execz .LBB0_171
; %bb.170:                              ;   in Loop: Header=BB0_163 Depth=1
	s_waitcnt vmcnt(0)
	flat_load_dwordx2 v[4:5], v[0:1]
	v_add_co_u32 v22, vcc_lo, v0, 8
	v_add_co_ci_u32_e32 v23, vcc_lo, 0, v1, vcc_lo
	s_waitcnt vmcnt(0) lgkmcnt(0)
	v_and_b32_e32 v6, 0xff, v5
	v_and_b32_e32 v10, 0xff00, v5
	;; [unrolled: 1-line block ×4, first 2 shown]
	v_or3_b32 v4, v4, 0, 0
	v_or_b32_e32 v10, v6, v10
	v_add_nc_u32_e32 v6, -8, v28
	v_or3_b32 v5, v10, v11, v5
.LBB0_171:                              ;   in Loop: Header=BB0_163 Depth=1
	s_or_b32 exec_lo, exec_lo, s4
                                        ; implicit-def: $vgpr10_vgpr11
                                        ; implicit-def: $sgpr5
	s_mov_b32 s4, exec_lo
	v_cmpx_gt_u32_e32 8, v6
	s_xor_b32 s10, exec_lo, s4
	s_cbranch_execz .LBB0_177
; %bb.172:                              ;   in Loop: Header=BB0_163 Depth=1
	v_mov_b32_e32 v10, 0
	v_mov_b32_e32 v11, 0
	s_mov_b32 s11, exec_lo
	v_cmpx_ne_u32_e32 0, v6
	s_cbranch_execz .LBB0_176
; %bb.173:                              ;   in Loop: Header=BB0_163 Depth=1
	v_mov_b32_e32 v10, 0
	v_mov_b32_e32 v11, 0
	s_mov_b64 s[4:5], 0
	s_mov_b32 s15, 0
	s_mov_b64 s[8:9], 0
	.p2align	6
.LBB0_174:                              ;   Parent Loop BB0_163 Depth=1
                                        ; =>  This Inner Loop Header: Depth=2
	v_add_co_u32 v12, vcc_lo, v22, s8
	v_add_co_ci_u32_e32 v13, vcc_lo, s9, v23, vcc_lo
	s_add_u32 s8, s8, 1
	s_addc_u32 s9, s9, 0
	v_cmp_eq_u32_e32 vcc_lo, s8, v6
	flat_load_ubyte v12, v[12:13]
	v_mov_b32_e32 v13, s14
	s_waitcnt vmcnt(0) lgkmcnt(0)
	v_and_b32_e32 v12, 0xffff, v12
	v_lshlrev_b64 v[12:13], s4, v[12:13]
	s_add_u32 s4, s4, 8
	s_addc_u32 s5, s5, 0
	s_or_b32 s15, vcc_lo, s15
	v_or_b32_e32 v11, v13, v11
	v_or_b32_e32 v10, v12, v10
	s_andn2_b32 exec_lo, exec_lo, s15
	s_cbranch_execnz .LBB0_174
; %bb.175:                              ;   in Loop: Header=BB0_163 Depth=1
	s_or_b32 exec_lo, exec_lo, s15
.LBB0_176:                              ;   in Loop: Header=BB0_163 Depth=1
	s_or_b32 exec_lo, exec_lo, s11
	s_mov_b32 s5, 0
                                        ; implicit-def: $vgpr6
.LBB0_177:                              ;   in Loop: Header=BB0_163 Depth=1
	s_or_saveexec_b32 s4, s10
	v_mov_b32_e32 v14, s5
	s_xor_b32 exec_lo, exec_lo, s4
	s_cbranch_execz .LBB0_179
; %bb.178:                              ;   in Loop: Header=BB0_163 Depth=1
	flat_load_dwordx2 v[10:11], v[22:23]
	v_add_co_u32 v22, vcc_lo, v22, 8
	v_add_nc_u32_e32 v14, -8, v6
	v_add_co_ci_u32_e32 v23, vcc_lo, 0, v23, vcc_lo
	s_waitcnt vmcnt(0) lgkmcnt(0)
	v_and_b32_e32 v12, 0xff, v11
	v_and_b32_e32 v13, 0xff00, v11
	;; [unrolled: 1-line block ×4, first 2 shown]
	v_or3_b32 v10, v10, 0, 0
	v_or_b32_e32 v12, v12, v13
	v_or3_b32 v11, v12, v15, v11
.LBB0_179:                              ;   in Loop: Header=BB0_163 Depth=1
	s_or_b32 exec_lo, exec_lo, s4
                                        ; implicit-def: $sgpr5
	s_mov_b32 s4, exec_lo
	v_cmpx_gt_u32_e32 8, v14
	s_xor_b32 s10, exec_lo, s4
	s_cbranch_execz .LBB0_185
; %bb.180:                              ;   in Loop: Header=BB0_163 Depth=1
	v_mov_b32_e32 v12, 0
	v_mov_b32_e32 v13, 0
	s_mov_b32 s11, exec_lo
	v_cmpx_ne_u32_e32 0, v14
	s_cbranch_execz .LBB0_184
; %bb.181:                              ;   in Loop: Header=BB0_163 Depth=1
	v_mov_b32_e32 v12, 0
	v_mov_b32_e32 v13, 0
	s_mov_b64 s[4:5], 0
	s_mov_b32 s15, 0
	s_mov_b64 s[8:9], 0
	.p2align	6
.LBB0_182:                              ;   Parent Loop BB0_163 Depth=1
                                        ; =>  This Inner Loop Header: Depth=2
	v_add_co_u32 v15, vcc_lo, v22, s8
	v_add_co_ci_u32_e32 v16, vcc_lo, s9, v23, vcc_lo
	s_add_u32 s8, s8, 1
	s_addc_u32 s9, s9, 0
	v_cmp_eq_u32_e32 vcc_lo, s8, v14
	flat_load_ubyte v6, v[15:16]
	v_mov_b32_e32 v16, s14
	s_waitcnt vmcnt(0) lgkmcnt(0)
	v_and_b32_e32 v15, 0xffff, v6
	v_lshlrev_b64 v[15:16], s4, v[15:16]
	s_add_u32 s4, s4, 8
	s_addc_u32 s5, s5, 0
	s_or_b32 s15, vcc_lo, s15
	v_or_b32_e32 v13, v16, v13
	v_or_b32_e32 v12, v15, v12
	s_andn2_b32 exec_lo, exec_lo, s15
	s_cbranch_execnz .LBB0_182
; %bb.183:                              ;   in Loop: Header=BB0_163 Depth=1
	s_or_b32 exec_lo, exec_lo, s15
.LBB0_184:                              ;   in Loop: Header=BB0_163 Depth=1
	s_or_b32 exec_lo, exec_lo, s11
	s_mov_b32 s5, 0
                                        ; implicit-def: $vgpr14
.LBB0_185:                              ;   in Loop: Header=BB0_163 Depth=1
	s_or_saveexec_b32 s4, s10
	v_mov_b32_e32 v6, s5
	s_xor_b32 exec_lo, exec_lo, s4
	s_cbranch_execz .LBB0_187
; %bb.186:                              ;   in Loop: Header=BB0_163 Depth=1
	flat_load_dwordx2 v[12:13], v[22:23]
	v_add_co_u32 v22, vcc_lo, v22, 8
	v_add_co_ci_u32_e32 v23, vcc_lo, 0, v23, vcc_lo
	s_waitcnt vmcnt(0) lgkmcnt(0)
	v_and_b32_e32 v6, 0xff, v13
	v_and_b32_e32 v15, 0xff00, v13
	;; [unrolled: 1-line block ×4, first 2 shown]
	v_or3_b32 v12, v12, 0, 0
	v_or_b32_e32 v15, v6, v15
	v_add_nc_u32_e32 v6, -8, v14
	v_or3_b32 v13, v15, v16, v13
.LBB0_187:                              ;   in Loop: Header=BB0_163 Depth=1
	s_or_b32 exec_lo, exec_lo, s4
                                        ; implicit-def: $vgpr14_vgpr15
                                        ; implicit-def: $sgpr5
	s_mov_b32 s4, exec_lo
	v_cmpx_gt_u32_e32 8, v6
	s_xor_b32 s10, exec_lo, s4
	s_cbranch_execz .LBB0_193
; %bb.188:                              ;   in Loop: Header=BB0_163 Depth=1
	v_mov_b32_e32 v14, 0
	v_mov_b32_e32 v15, 0
	s_mov_b32 s11, exec_lo
	v_cmpx_ne_u32_e32 0, v6
	s_cbranch_execz .LBB0_192
; %bb.189:                              ;   in Loop: Header=BB0_163 Depth=1
	v_mov_b32_e32 v14, 0
	v_mov_b32_e32 v15, 0
	s_mov_b64 s[4:5], 0
	s_mov_b32 s15, 0
	s_mov_b64 s[8:9], 0
	.p2align	6
.LBB0_190:                              ;   Parent Loop BB0_163 Depth=1
                                        ; =>  This Inner Loop Header: Depth=2
	v_add_co_u32 v16, vcc_lo, v22, s8
	v_add_co_ci_u32_e32 v17, vcc_lo, s9, v23, vcc_lo
	s_add_u32 s8, s8, 1
	s_addc_u32 s9, s9, 0
	v_cmp_eq_u32_e32 vcc_lo, s8, v6
	flat_load_ubyte v16, v[16:17]
	v_mov_b32_e32 v17, s14
	s_waitcnt vmcnt(0) lgkmcnt(0)
	v_and_b32_e32 v16, 0xffff, v16
	v_lshlrev_b64 v[16:17], s4, v[16:17]
	s_add_u32 s4, s4, 8
	s_addc_u32 s5, s5, 0
	s_or_b32 s15, vcc_lo, s15
	v_or_b32_e32 v15, v17, v15
	v_or_b32_e32 v14, v16, v14
	s_andn2_b32 exec_lo, exec_lo, s15
	s_cbranch_execnz .LBB0_190
; %bb.191:                              ;   in Loop: Header=BB0_163 Depth=1
	s_or_b32 exec_lo, exec_lo, s15
.LBB0_192:                              ;   in Loop: Header=BB0_163 Depth=1
	s_or_b32 exec_lo, exec_lo, s11
	s_mov_b32 s5, 0
                                        ; implicit-def: $vgpr6
.LBB0_193:                              ;   in Loop: Header=BB0_163 Depth=1
	s_or_saveexec_b32 s4, s10
	v_mov_b32_e32 v18, s5
	s_xor_b32 exec_lo, exec_lo, s4
	s_cbranch_execz .LBB0_195
; %bb.194:                              ;   in Loop: Header=BB0_163 Depth=1
	flat_load_dwordx2 v[14:15], v[22:23]
	v_add_co_u32 v22, vcc_lo, v22, 8
	v_add_nc_u32_e32 v18, -8, v6
	v_add_co_ci_u32_e32 v23, vcc_lo, 0, v23, vcc_lo
	s_waitcnt vmcnt(0) lgkmcnt(0)
	v_and_b32_e32 v16, 0xff, v15
	v_and_b32_e32 v17, 0xff00, v15
	;; [unrolled: 1-line block ×4, first 2 shown]
	v_or3_b32 v14, v14, 0, 0
	v_or_b32_e32 v16, v16, v17
	v_or3_b32 v15, v16, v19, v15
.LBB0_195:                              ;   in Loop: Header=BB0_163 Depth=1
	s_or_b32 exec_lo, exec_lo, s4
                                        ; implicit-def: $sgpr5
	s_mov_b32 s4, exec_lo
	v_cmpx_gt_u32_e32 8, v18
	s_xor_b32 s10, exec_lo, s4
	s_cbranch_execz .LBB0_201
; %bb.196:                              ;   in Loop: Header=BB0_163 Depth=1
	v_mov_b32_e32 v16, 0
	v_mov_b32_e32 v17, 0
	s_mov_b32 s11, exec_lo
	v_cmpx_ne_u32_e32 0, v18
	s_cbranch_execz .LBB0_200
; %bb.197:                              ;   in Loop: Header=BB0_163 Depth=1
	v_mov_b32_e32 v16, 0
	v_mov_b32_e32 v17, 0
	s_mov_b64 s[4:5], 0
	s_mov_b32 s15, 0
	s_mov_b64 s[8:9], 0
	.p2align	6
.LBB0_198:                              ;   Parent Loop BB0_163 Depth=1
                                        ; =>  This Inner Loop Header: Depth=2
	v_add_co_u32 v19, vcc_lo, v22, s8
	v_add_co_ci_u32_e32 v20, vcc_lo, s9, v23, vcc_lo
	s_add_u32 s8, s8, 1
	s_addc_u32 s9, s9, 0
	v_cmp_eq_u32_e32 vcc_lo, s8, v18
	flat_load_ubyte v6, v[19:20]
	v_mov_b32_e32 v20, s14
	s_waitcnt vmcnt(0) lgkmcnt(0)
	v_and_b32_e32 v19, 0xffff, v6
	v_lshlrev_b64 v[19:20], s4, v[19:20]
	s_add_u32 s4, s4, 8
	s_addc_u32 s5, s5, 0
	s_or_b32 s15, vcc_lo, s15
	v_or_b32_e32 v17, v20, v17
	v_or_b32_e32 v16, v19, v16
	s_andn2_b32 exec_lo, exec_lo, s15
	s_cbranch_execnz .LBB0_198
; %bb.199:                              ;   in Loop: Header=BB0_163 Depth=1
	s_or_b32 exec_lo, exec_lo, s15
.LBB0_200:                              ;   in Loop: Header=BB0_163 Depth=1
	s_or_b32 exec_lo, exec_lo, s11
	s_mov_b32 s5, 0
                                        ; implicit-def: $vgpr18
.LBB0_201:                              ;   in Loop: Header=BB0_163 Depth=1
	s_or_saveexec_b32 s4, s10
	v_mov_b32_e32 v6, s5
	s_xor_b32 exec_lo, exec_lo, s4
	s_cbranch_execz .LBB0_203
; %bb.202:                              ;   in Loop: Header=BB0_163 Depth=1
	flat_load_dwordx2 v[16:17], v[22:23]
	v_add_co_u32 v22, vcc_lo, v22, 8
	v_add_co_ci_u32_e32 v23, vcc_lo, 0, v23, vcc_lo
	s_waitcnt vmcnt(0) lgkmcnt(0)
	v_and_b32_e32 v6, 0xff, v17
	v_and_b32_e32 v19, 0xff00, v17
	;; [unrolled: 1-line block ×4, first 2 shown]
	v_or3_b32 v16, v16, 0, 0
	v_or_b32_e32 v19, v6, v19
	v_add_nc_u32_e32 v6, -8, v18
	v_or3_b32 v17, v19, v20, v17
.LBB0_203:                              ;   in Loop: Header=BB0_163 Depth=1
	s_or_b32 exec_lo, exec_lo, s4
                                        ; implicit-def: $vgpr18_vgpr19
                                        ; implicit-def: $sgpr5
	s_mov_b32 s4, exec_lo
	v_cmpx_gt_u32_e32 8, v6
	s_xor_b32 s10, exec_lo, s4
	s_cbranch_execz .LBB0_209
; %bb.204:                              ;   in Loop: Header=BB0_163 Depth=1
	v_mov_b32_e32 v18, 0
	v_mov_b32_e32 v19, 0
	s_mov_b32 s11, exec_lo
	v_cmpx_ne_u32_e32 0, v6
	s_cbranch_execz .LBB0_208
; %bb.205:                              ;   in Loop: Header=BB0_163 Depth=1
	v_mov_b32_e32 v18, 0
	v_mov_b32_e32 v19, 0
	s_mov_b64 s[4:5], 0
	s_mov_b32 s15, 0
	s_mov_b64 s[8:9], 0
	.p2align	6
.LBB0_206:                              ;   Parent Loop BB0_163 Depth=1
                                        ; =>  This Inner Loop Header: Depth=2
	v_add_co_u32 v20, vcc_lo, v22, s8
	v_add_co_ci_u32_e32 v21, vcc_lo, s9, v23, vcc_lo
	s_add_u32 s8, s8, 1
	s_addc_u32 s9, s9, 0
	v_cmp_eq_u32_e32 vcc_lo, s8, v6
	flat_load_ubyte v20, v[20:21]
	v_mov_b32_e32 v21, s14
	s_waitcnt vmcnt(0) lgkmcnt(0)
	v_and_b32_e32 v20, 0xffff, v20
	v_lshlrev_b64 v[20:21], s4, v[20:21]
	s_add_u32 s4, s4, 8
	s_addc_u32 s5, s5, 0
	s_or_b32 s15, vcc_lo, s15
	v_or_b32_e32 v19, v21, v19
	v_or_b32_e32 v18, v20, v18
	s_andn2_b32 exec_lo, exec_lo, s15
	s_cbranch_execnz .LBB0_206
; %bb.207:                              ;   in Loop: Header=BB0_163 Depth=1
	s_or_b32 exec_lo, exec_lo, s15
.LBB0_208:                              ;   in Loop: Header=BB0_163 Depth=1
	s_or_b32 exec_lo, exec_lo, s11
	s_mov_b32 s5, 0
                                        ; implicit-def: $vgpr6
.LBB0_209:                              ;   in Loop: Header=BB0_163 Depth=1
	s_or_saveexec_b32 s4, s10
	v_mov_b32_e32 v24, s5
	s_xor_b32 exec_lo, exec_lo, s4
	s_cbranch_execz .LBB0_211
; %bb.210:                              ;   in Loop: Header=BB0_163 Depth=1
	flat_load_dwordx2 v[18:19], v[22:23]
	v_add_co_u32 v22, vcc_lo, v22, 8
	v_add_nc_u32_e32 v24, -8, v6
	v_add_co_ci_u32_e32 v23, vcc_lo, 0, v23, vcc_lo
	s_waitcnt vmcnt(0) lgkmcnt(0)
	v_and_b32_e32 v20, 0xff, v19
	v_and_b32_e32 v21, 0xff00, v19
	;; [unrolled: 1-line block ×4, first 2 shown]
	v_or3_b32 v18, v18, 0, 0
	v_or_b32_e32 v20, v20, v21
	v_or3_b32 v19, v20, v25, v19
.LBB0_211:                              ;   in Loop: Header=BB0_163 Depth=1
	s_or_b32 exec_lo, exec_lo, s4
	s_mov_b32 s4, exec_lo
	v_cmpx_gt_u32_e32 8, v24
	s_xor_b32 s8, exec_lo, s4
	s_cbranch_execz .LBB0_217
; %bb.212:                              ;   in Loop: Header=BB0_163 Depth=1
	v_mov_b32_e32 v20, 0
	v_mov_b32_e32 v21, 0
	s_mov_b32 s9, exec_lo
	v_cmpx_ne_u32_e32 0, v24
	s_cbranch_execz .LBB0_216
; %bb.213:                              ;   in Loop: Header=BB0_163 Depth=1
	v_mov_b32_e32 v20, 0
	v_mov_b32_e32 v21, 0
	s_mov_b64 s[4:5], 0
	s_mov_b32 s10, 0
	.p2align	6
.LBB0_214:                              ;   Parent Loop BB0_163 Depth=1
                                        ; =>  This Inner Loop Header: Depth=2
	flat_load_ubyte v6, v[22:23]
	v_mov_b32_e32 v31, s14
	v_add_nc_u32_e32 v24, -1, v24
	v_add_co_u32 v22, vcc_lo, v22, 1
	v_add_co_ci_u32_e32 v23, vcc_lo, 0, v23, vcc_lo
	v_cmp_eq_u32_e32 vcc_lo, 0, v24
	s_waitcnt vmcnt(0) lgkmcnt(0)
	v_and_b32_e32 v30, 0xffff, v6
	v_lshlrev_b64 v[30:31], s4, v[30:31]
	s_add_u32 s4, s4, 8
	s_addc_u32 s5, s5, 0
	s_or_b32 s10, vcc_lo, s10
	v_or_b32_e32 v21, v31, v21
	v_or_b32_e32 v20, v30, v20
	s_andn2_b32 exec_lo, exec_lo, s10
	s_cbranch_execnz .LBB0_214
; %bb.215:                              ;   in Loop: Header=BB0_163 Depth=1
	s_or_b32 exec_lo, exec_lo, s10
.LBB0_216:                              ;   in Loop: Header=BB0_163 Depth=1
	s_or_b32 exec_lo, exec_lo, s9
                                        ; implicit-def: $vgpr22_vgpr23
.LBB0_217:                              ;   in Loop: Header=BB0_163 Depth=1
	s_andn2_saveexec_b32 s4, s8
	s_cbranch_execz .LBB0_219
; %bb.218:                              ;   in Loop: Header=BB0_163 Depth=1
	flat_load_dwordx2 v[20:21], v[22:23]
	s_waitcnt vmcnt(0) lgkmcnt(0)
	v_and_b32_e32 v6, 0xff, v21
	v_and_b32_e32 v22, 0xff00, v21
	;; [unrolled: 1-line block ×4, first 2 shown]
	v_or3_b32 v20, v20, 0, 0
	v_or_b32_e32 v6, v6, v22
	v_or3_b32 v21, v6, v23, v21
.LBB0_219:                              ;   in Loop: Header=BB0_163 Depth=1
	s_or_b32 exec_lo, exec_lo, s4
	v_readfirstlane_b32 s4, v33
	v_mov_b32_e32 v30, 0
	v_mov_b32_e32 v31, 0
	v_cmp_eq_u32_e64 s4, s4, v33
	s_and_saveexec_b32 s5, s4
	s_cbranch_execz .LBB0_225
; %bb.220:                              ;   in Loop: Header=BB0_163 Depth=1
	global_load_dwordx2 v[24:25], v7, s[6:7] offset:24 glc dlc
	s_waitcnt vmcnt(0)
	buffer_gl1_inv
	buffer_gl0_inv
	s_clause 0x1
	global_load_dwordx2 v[22:23], v7, s[6:7] offset:40
	global_load_dwordx2 v[30:31], v7, s[6:7]
	s_mov_b32 s8, exec_lo
	s_waitcnt vmcnt(1)
	v_and_b32_e32 v6, v23, v25
	v_and_b32_e32 v22, v22, v24
	v_mul_lo_u32 v6, v6, 24
	v_mul_hi_u32 v23, v22, 24
	v_mul_lo_u32 v22, v22, 24
	v_add_nc_u32_e32 v6, v23, v6
	s_waitcnt vmcnt(0)
	v_add_co_u32 v22, vcc_lo, v30, v22
	v_add_co_ci_u32_e32 v23, vcc_lo, v31, v6, vcc_lo
	global_load_dwordx2 v[22:23], v[22:23], off glc dlc
	s_waitcnt vmcnt(0)
	global_atomic_cmpswap_x2 v[30:31], v7, v[22:25], s[6:7] offset:24 glc
	s_waitcnt vmcnt(0)
	buffer_gl1_inv
	buffer_gl0_inv
	v_cmpx_ne_u64_e64 v[30:31], v[24:25]
	s_cbranch_execz .LBB0_224
; %bb.221:                              ;   in Loop: Header=BB0_163 Depth=1
	s_mov_b32 s9, 0
	.p2align	6
.LBB0_222:                              ;   Parent Loop BB0_163 Depth=1
                                        ; =>  This Inner Loop Header: Depth=2
	s_sleep 1
	s_clause 0x1
	global_load_dwordx2 v[22:23], v7, s[6:7] offset:40
	global_load_dwordx2 v[34:35], v7, s[6:7]
	v_mov_b32_e32 v24, v30
	v_mov_b32_e32 v25, v31
	s_waitcnt vmcnt(1)
	v_and_b32_e32 v6, v22, v24
	v_and_b32_e32 v22, v23, v25
	s_waitcnt vmcnt(0)
	v_mad_u64_u32 v[30:31], null, v6, 24, v[34:35]
	v_mov_b32_e32 v6, v31
	v_mad_u64_u32 v[22:23], null, v22, 24, v[6:7]
	v_mov_b32_e32 v31, v22
	global_load_dwordx2 v[22:23], v[30:31], off glc dlc
	s_waitcnt vmcnt(0)
	global_atomic_cmpswap_x2 v[30:31], v7, v[22:25], s[6:7] offset:24 glc
	s_waitcnt vmcnt(0)
	buffer_gl1_inv
	buffer_gl0_inv
	v_cmp_eq_u64_e32 vcc_lo, v[30:31], v[24:25]
	s_or_b32 s9, vcc_lo, s9
	s_andn2_b32 exec_lo, exec_lo, s9
	s_cbranch_execnz .LBB0_222
; %bb.223:                              ;   in Loop: Header=BB0_163 Depth=1
	s_or_b32 exec_lo, exec_lo, s9
.LBB0_224:                              ;   in Loop: Header=BB0_163 Depth=1
	s_or_b32 exec_lo, exec_lo, s8
.LBB0_225:                              ;   in Loop: Header=BB0_163 Depth=1
	s_or_b32 exec_lo, exec_lo, s5
	s_clause 0x1
	global_load_dwordx2 v[34:35], v7, s[6:7] offset:40
	global_load_dwordx4 v[22:25], v7, s[6:7]
	v_readfirstlane_b32 s8, v30
	v_readfirstlane_b32 s9, v31
	s_mov_b32 s5, exec_lo
	s_waitcnt vmcnt(1)
	v_readfirstlane_b32 s10, v34
	v_readfirstlane_b32 s11, v35
	s_and_b64 s[10:11], s[8:9], s[10:11]
	s_mul_i32 s15, s11, 24
	s_mul_hi_u32 s16, s10, 24
	s_mul_i32 s17, s10, 24
	s_add_i32 s16, s16, s15
	s_waitcnt vmcnt(0)
	v_add_co_u32 v30, vcc_lo, v22, s17
	v_add_co_ci_u32_e32 v31, vcc_lo, s16, v23, vcc_lo
	s_and_saveexec_b32 s15, s4
	s_cbranch_execz .LBB0_227
; %bb.226:                              ;   in Loop: Header=BB0_163 Depth=1
	v_mov_b32_e32 v6, s5
	global_store_dwordx4 v[30:31], v[6:9], off offset:8
.LBB0_227:                              ;   in Loop: Header=BB0_163 Depth=1
	s_or_b32 exec_lo, exec_lo, s15
	s_lshl_b64 s[10:11], s[10:11], 12
	v_or_b32_e32 v6, 2, v2
	v_add_co_u32 v24, vcc_lo, v24, s10
	v_add_co_ci_u32_e32 v25, vcc_lo, s11, v25, vcc_lo
	v_cmp_lt_u64_e32 vcc_lo, 56, v[26:27]
	v_lshl_add_u32 v34, v28, 2, 28
	v_readfirstlane_b32 s10, v24
	v_readfirstlane_b32 s11, v25
	v_cndmask_b32_e32 v2, v6, v2, vcc_lo
	v_and_b32_e32 v6, 0x1e0, v34
	v_and_or_b32 v2, 0xffffff1f, v2, v6
	global_store_dwordx4 v32, v[10:13], s[10:11] offset:16
	global_store_dwordx4 v32, v[14:17], s[10:11] offset:32
	global_store_dwordx4 v32, v[2:5], s[10:11]
	global_store_dwordx4 v32, v[18:21], s[10:11] offset:48
	s_and_saveexec_b32 s5, s4
	s_cbranch_execz .LBB0_235
; %bb.228:                              ;   in Loop: Header=BB0_163 Depth=1
	s_clause 0x1
	global_load_dwordx2 v[14:15], v7, s[6:7] offset:32 glc dlc
	global_load_dwordx2 v[2:3], v7, s[6:7] offset:40
	v_mov_b32_e32 v12, s8
	v_mov_b32_e32 v13, s9
	s_waitcnt vmcnt(0)
	v_readfirstlane_b32 s10, v2
	v_readfirstlane_b32 s11, v3
	s_and_b64 s[10:11], s[10:11], s[8:9]
	s_mul_i32 s11, s11, 24
	s_mul_hi_u32 s15, s10, 24
	s_mul_i32 s10, s10, 24
	s_add_i32 s15, s15, s11
	v_add_co_u32 v10, vcc_lo, v22, s10
	v_add_co_ci_u32_e32 v11, vcc_lo, s15, v23, vcc_lo
	s_mov_b32 s10, exec_lo
	global_store_dwordx2 v[10:11], v[14:15], off
	s_waitcnt_vscnt null, 0x0
	global_atomic_cmpswap_x2 v[4:5], v7, v[12:15], s[6:7] offset:32 glc
	s_waitcnt vmcnt(0)
	v_cmpx_ne_u64_e64 v[4:5], v[14:15]
	s_cbranch_execz .LBB0_231
; %bb.229:                              ;   in Loop: Header=BB0_163 Depth=1
	s_mov_b32 s11, 0
.LBB0_230:                              ;   Parent Loop BB0_163 Depth=1
                                        ; =>  This Inner Loop Header: Depth=2
	v_mov_b32_e32 v2, s8
	v_mov_b32_e32 v3, s9
	s_sleep 1
	global_store_dwordx2 v[10:11], v[4:5], off
	s_waitcnt_vscnt null, 0x0
	global_atomic_cmpswap_x2 v[2:3], v7, v[2:5], s[6:7] offset:32 glc
	s_waitcnt vmcnt(0)
	v_cmp_eq_u64_e32 vcc_lo, v[2:3], v[4:5]
	v_mov_b32_e32 v5, v3
	v_mov_b32_e32 v4, v2
	s_or_b32 s11, vcc_lo, s11
	s_andn2_b32 exec_lo, exec_lo, s11
	s_cbranch_execnz .LBB0_230
.LBB0_231:                              ;   in Loop: Header=BB0_163 Depth=1
	s_or_b32 exec_lo, exec_lo, s10
	global_load_dwordx2 v[2:3], v7, s[6:7] offset:16
	s_mov_b32 s11, exec_lo
	s_mov_b32 s10, exec_lo
	v_mbcnt_lo_u32_b32 v4, s11, 0
	v_cmpx_eq_u32_e32 0, v4
	s_cbranch_execz .LBB0_233
; %bb.232:                              ;   in Loop: Header=BB0_163 Depth=1
	s_bcnt1_i32_b32 s11, s11
	v_mov_b32_e32 v6, s11
	s_waitcnt vmcnt(0)
	global_atomic_add_x2 v[2:3], v[6:7], off offset:8
.LBB0_233:                              ;   in Loop: Header=BB0_163 Depth=1
	s_or_b32 exec_lo, exec_lo, s10
	s_waitcnt vmcnt(0)
	global_load_dwordx2 v[4:5], v[2:3], off offset:16
	s_waitcnt vmcnt(0)
	v_cmp_eq_u64_e32 vcc_lo, 0, v[4:5]
	s_cbranch_vccnz .LBB0_235
; %bb.234:                              ;   in Loop: Header=BB0_163 Depth=1
	global_load_dword v6, v[2:3], off offset:24
	s_waitcnt vmcnt(0)
	v_and_b32_e32 v2, 0x7fffff, v6
	s_waitcnt_vscnt null, 0x0
	global_store_dwordx2 v[4:5], v[6:7], off
	v_readfirstlane_b32 m0, v2
	s_sendmsg sendmsg(MSG_INTERRUPT)
.LBB0_235:                              ;   in Loop: Header=BB0_163 Depth=1
	s_or_b32 exec_lo, exec_lo, s5
	v_add_co_u32 v2, vcc_lo, v24, v32
	v_add_co_ci_u32_e32 v3, vcc_lo, 0, v25, vcc_lo
	s_branch .LBB0_239
	.p2align	6
.LBB0_236:                              ;   in Loop: Header=BB0_239 Depth=2
	s_or_b32 exec_lo, exec_lo, s5
	v_readfirstlane_b32 s5, v4
	s_cmp_eq_u32 s5, 0
	s_cbranch_scc1 .LBB0_238
; %bb.237:                              ;   in Loop: Header=BB0_239 Depth=2
	s_sleep 1
	s_cbranch_execnz .LBB0_239
	s_branch .LBB0_241
	.p2align	6
.LBB0_238:                              ;   in Loop: Header=BB0_163 Depth=1
	s_branch .LBB0_241
.LBB0_239:                              ;   Parent Loop BB0_163 Depth=1
                                        ; =>  This Inner Loop Header: Depth=2
	v_mov_b32_e32 v4, 1
	s_and_saveexec_b32 s5, s4
	s_cbranch_execz .LBB0_236
; %bb.240:                              ;   in Loop: Header=BB0_239 Depth=2
	global_load_dword v4, v[30:31], off offset:20 glc dlc
	s_waitcnt vmcnt(0)
	buffer_gl1_inv
	buffer_gl0_inv
	v_and_b32_e32 v4, 1, v4
	s_branch .LBB0_236
.LBB0_241:                              ;   in Loop: Header=BB0_163 Depth=1
	global_load_dwordx4 v[2:5], v[2:3], off
	s_and_saveexec_b32 s5, s4
	s_cbranch_execz .LBB0_162
; %bb.242:                              ;   in Loop: Header=BB0_163 Depth=1
	s_clause 0x2
	global_load_dwordx2 v[4:5], v7, s[6:7] offset:40
	global_load_dwordx2 v[14:15], v7, s[6:7] offset:24 glc dlc
	global_load_dwordx2 v[12:13], v7, s[6:7]
	s_waitcnt vmcnt(2)
	v_add_co_u32 v6, vcc_lo, v4, 1
	v_add_co_ci_u32_e32 v16, vcc_lo, 0, v5, vcc_lo
	v_add_co_u32 v10, vcc_lo, v6, s8
	v_add_co_ci_u32_e32 v11, vcc_lo, s9, v16, vcc_lo
	v_cmp_eq_u64_e32 vcc_lo, 0, v[10:11]
	v_cndmask_b32_e32 v11, v11, v16, vcc_lo
	v_cndmask_b32_e32 v10, v10, v6, vcc_lo
	v_and_b32_e32 v5, v11, v5
	v_and_b32_e32 v4, v10, v4
	v_mul_lo_u32 v5, v5, 24
	v_mul_hi_u32 v6, v4, 24
	v_mul_lo_u32 v4, v4, 24
	v_add_nc_u32_e32 v5, v6, v5
	s_waitcnt vmcnt(0)
	v_add_co_u32 v4, vcc_lo, v12, v4
	v_mov_b32_e32 v12, v14
	v_add_co_ci_u32_e32 v5, vcc_lo, v13, v5, vcc_lo
	v_mov_b32_e32 v13, v15
	global_store_dwordx2 v[4:5], v[14:15], off
	s_waitcnt_vscnt null, 0x0
	global_atomic_cmpswap_x2 v[12:13], v7, v[10:13], s[6:7] offset:24 glc
	s_waitcnt vmcnt(0)
	v_cmp_ne_u64_e32 vcc_lo, v[12:13], v[14:15]
	s_and_b32 exec_lo, exec_lo, vcc_lo
	s_cbranch_execz .LBB0_162
; %bb.243:                              ;   in Loop: Header=BB0_163 Depth=1
	s_mov_b32 s4, 0
.LBB0_244:                              ;   Parent Loop BB0_163 Depth=1
                                        ; =>  This Inner Loop Header: Depth=2
	s_sleep 1
	global_store_dwordx2 v[4:5], v[12:13], off
	s_waitcnt_vscnt null, 0x0
	global_atomic_cmpswap_x2 v[14:15], v7, v[10:13], s[6:7] offset:24 glc
	s_waitcnt vmcnt(0)
	v_cmp_eq_u64_e32 vcc_lo, v[14:15], v[12:13]
	v_mov_b32_e32 v12, v14
	v_mov_b32_e32 v13, v15
	s_or_b32 s4, vcc_lo, s4
	s_andn2_b32 exec_lo, exec_lo, s4
	s_cbranch_execnz .LBB0_244
	s_branch .LBB0_162
.LBB0_245:
	s_and_saveexec_b32 s10, s4
	s_cbranch_execz .LBB0_249
; %bb.246:
	v_mov_b32_e32 v6, 0
	s_clause 0x2
	global_load_dwordx2 v[2:3], v6, s[6:7] offset:40
	global_load_dwordx2 v[7:8], v6, s[6:7] offset:24 glc dlc
	global_load_dwordx2 v[4:5], v6, s[6:7]
	s_waitcnt vmcnt(2)
	v_add_co_u32 v9, vcc_lo, v2, 1
	v_add_co_ci_u32_e32 v10, vcc_lo, 0, v3, vcc_lo
	v_add_co_u32 v0, vcc_lo, v9, s8
	v_add_co_ci_u32_e32 v1, vcc_lo, s9, v10, vcc_lo
	v_cmp_eq_u64_e32 vcc_lo, 0, v[0:1]
	v_cndmask_b32_e32 v1, v1, v10, vcc_lo
	v_cndmask_b32_e32 v0, v0, v9, vcc_lo
	v_and_b32_e32 v3, v1, v3
	v_and_b32_e32 v2, v0, v2
	v_mul_lo_u32 v3, v3, 24
	v_mul_hi_u32 v9, v2, 24
	v_mul_lo_u32 v2, v2, 24
	v_add_nc_u32_e32 v3, v9, v3
	s_waitcnt vmcnt(0)
	v_add_co_u32 v4, vcc_lo, v4, v2
	v_mov_b32_e32 v2, v7
	v_add_co_ci_u32_e32 v5, vcc_lo, v5, v3, vcc_lo
	v_mov_b32_e32 v3, v8
	global_store_dwordx2 v[4:5], v[7:8], off
	s_waitcnt_vscnt null, 0x0
	global_atomic_cmpswap_x2 v[2:3], v6, v[0:3], s[6:7] offset:24 glc
	s_waitcnt vmcnt(0)
	v_cmp_ne_u64_e32 vcc_lo, v[2:3], v[7:8]
	s_and_b32 exec_lo, exec_lo, vcc_lo
	s_cbranch_execz .LBB0_249
; %bb.247:
	s_mov_b32 s4, 0
.LBB0_248:                              ; =>This Inner Loop Header: Depth=1
	s_sleep 1
	global_store_dwordx2 v[4:5], v[2:3], off
	s_waitcnt_vscnt null, 0x0
	global_atomic_cmpswap_x2 v[7:8], v6, v[0:3], s[6:7] offset:24 glc
	s_waitcnt vmcnt(0)
	v_cmp_eq_u64_e32 vcc_lo, v[7:8], v[2:3]
	v_mov_b32_e32 v2, v7
	v_mov_b32_e32 v3, v8
	s_or_b32 s4, vcc_lo, s4
	s_andn2_b32 exec_lo, exec_lo, s4
	s_cbranch_execnz .LBB0_248
.LBB0_249:
	s_or_b32 exec_lo, exec_lo, s10
	s_or_b32 exec_lo, exec_lo, s5
	s_waitcnt lgkmcnt(0)
	s_setpc_b64 s[30:31]
.LBB0_250:
	s_or_b32 exec_lo, exec_lo, s13
                                        ; implicit-def: $vgpr2_vgpr3
                                        ; implicit-def: $vgpr32
                                        ; implicit-def: $vgpr33
	s_andn2_saveexec_b32 s5, s12
	s_cbranch_execnz .LBB0_136
.LBB0_251:
	s_or_b32 exec_lo, exec_lo, s5
	s_waitcnt vmcnt(0) lgkmcnt(0)
	s_setpc_b64 s[30:31]
.Lfunc_end0:
	.size	_ZNK8migraphx13basic_printerIZNS_4coutEvEUlT_E_ElsEPKc, .Lfunc_end0-_ZNK8migraphx13basic_printerIZNS_4coutEvEUlT_E_ElsEPKc
                                        ; -- End function
	.section	.AMDGPU.csdata,"",@progbits
; Function info:
; codeLenInByte = 9188
; NumSgprs: 34
; NumVgprs: 36
; ScratchSize: 0
; MemoryBound: 0
	.text
	.p2align	2                               ; -- Begin function _ZN8migraphx4testlsIKNS_13basic_printerIZNS_4coutEvEUlT_E_EEEERS3_S7_RKNS0_14lhs_expressionIbNS0_3nopEEE
	.type	_ZN8migraphx4testlsIKNS_13basic_printerIZNS_4coutEvEUlT_E_EEEERS3_S7_RKNS0_14lhs_expressionIbNS0_3nopEEE,@function
_ZN8migraphx4testlsIKNS_13basic_printerIZNS_4coutEvEUlT_E_EEEERS3_S7_RKNS0_14lhs_expressionIbNS0_3nopEEE: ; @_ZN8migraphx4testlsIKNS_13basic_printerIZNS_4coutEvEUlT_E_EEEERS3_S7_RKNS0_14lhs_expressionIbNS0_3nopEEE
; %bb.0:
	s_waitcnt vmcnt(0) expcnt(0) lgkmcnt(0)
	s_load_dwordx2 s[6:7], s[8:9], 0x50
	v_and_b32_e32 v0, 1, v0
	v_mbcnt_lo_u32_b32 v28, -1, 0
	v_cmp_eq_u32_e32 vcc_lo, 1, v0
	s_xor_b32 s4, vcc_lo, -1
	s_and_saveexec_b32 s5, s4
	s_xor_b32 s18, exec_lo, s5
	s_cbranch_execz .LBB1_106
; %bb.1:
	v_readfirstlane_b32 s4, v28
	v_mov_b32_e32 v6, 0
	v_mov_b32_e32 v7, 0
	v_cmp_eq_u32_e64 s4, s4, v28
	s_and_saveexec_b32 s5, s4
	s_cbranch_execz .LBB1_7
; %bb.2:
	v_mov_b32_e32 v0, 0
	s_mov_b32 s8, exec_lo
	s_waitcnt lgkmcnt(0)
	global_load_dwordx2 v[3:4], v0, s[6:7] offset:24 glc dlc
	s_waitcnt vmcnt(0)
	buffer_gl1_inv
	buffer_gl0_inv
	s_clause 0x1
	global_load_dwordx2 v[1:2], v0, s[6:7] offset:40
	global_load_dwordx2 v[5:6], v0, s[6:7]
	s_waitcnt vmcnt(1)
	v_and_b32_e32 v2, v2, v4
	v_and_b32_e32 v1, v1, v3
	v_mul_lo_u32 v2, v2, 24
	v_mul_hi_u32 v7, v1, 24
	v_mul_lo_u32 v1, v1, 24
	v_add_nc_u32_e32 v2, v7, v2
	s_waitcnt vmcnt(0)
	v_add_co_u32 v1, vcc_lo, v5, v1
	v_add_co_ci_u32_e32 v2, vcc_lo, v6, v2, vcc_lo
	global_load_dwordx2 v[1:2], v[1:2], off glc dlc
	s_waitcnt vmcnt(0)
	global_atomic_cmpswap_x2 v[6:7], v0, v[1:4], s[6:7] offset:24 glc
	s_waitcnt vmcnt(0)
	buffer_gl1_inv
	buffer_gl0_inv
	v_cmpx_ne_u64_e64 v[6:7], v[3:4]
	s_cbranch_execz .LBB1_6
; %bb.3:
	s_mov_b32 s9, 0
	.p2align	6
.LBB1_4:                                ; =>This Inner Loop Header: Depth=1
	s_sleep 1
	s_clause 0x1
	global_load_dwordx2 v[1:2], v0, s[6:7] offset:40
	global_load_dwordx2 v[8:9], v0, s[6:7]
	v_mov_b32_e32 v3, v6
	v_mov_b32_e32 v4, v7
	s_waitcnt vmcnt(1)
	v_and_b32_e32 v1, v1, v3
	v_and_b32_e32 v2, v2, v4
	s_waitcnt vmcnt(0)
	v_mad_u64_u32 v[5:6], null, v1, 24, v[8:9]
	v_mov_b32_e32 v1, v6
	v_mad_u64_u32 v[1:2], null, v2, 24, v[1:2]
	v_mov_b32_e32 v6, v1
	global_load_dwordx2 v[1:2], v[5:6], off glc dlc
	s_waitcnt vmcnt(0)
	global_atomic_cmpswap_x2 v[6:7], v0, v[1:4], s[6:7] offset:24 glc
	s_waitcnt vmcnt(0)
	buffer_gl1_inv
	buffer_gl0_inv
	v_cmp_eq_u64_e32 vcc_lo, v[6:7], v[3:4]
	s_or_b32 s9, vcc_lo, s9
	s_andn2_b32 exec_lo, exec_lo, s9
	s_cbranch_execnz .LBB1_4
; %bb.5:
	s_or_b32 exec_lo, exec_lo, s9
.LBB1_6:
	s_or_b32 exec_lo, exec_lo, s8
.LBB1_7:
	s_or_b32 exec_lo, exec_lo, s5
	v_mov_b32_e32 v5, 0
	v_readfirstlane_b32 s8, v6
	v_readfirstlane_b32 s9, v7
	s_mov_b32 s5, exec_lo
	s_waitcnt lgkmcnt(0)
	s_clause 0x1
	global_load_dwordx2 v[8:9], v5, s[6:7] offset:40
	global_load_dwordx4 v[0:3], v5, s[6:7]
	s_waitcnt vmcnt(1)
	v_readfirstlane_b32 s10, v8
	v_readfirstlane_b32 s11, v9
	s_and_b64 s[10:11], s[8:9], s[10:11]
	s_mul_i32 s12, s11, 24
	s_mul_hi_u32 s13, s10, 24
	s_mul_i32 s14, s10, 24
	s_add_i32 s13, s13, s12
	s_waitcnt vmcnt(0)
	v_add_co_u32 v8, vcc_lo, v0, s14
	v_add_co_ci_u32_e32 v9, vcc_lo, s13, v1, vcc_lo
	s_and_saveexec_b32 s12, s4
	s_cbranch_execz .LBB1_9
; %bb.8:
	v_mov_b32_e32 v4, s5
	v_mov_b32_e32 v6, 2
	;; [unrolled: 1-line block ×3, first 2 shown]
	global_store_dwordx4 v[8:9], v[4:7], off offset:8
.LBB1_9:
	s_or_b32 exec_lo, exec_lo, s12
	s_lshl_b64 s[10:11], s[10:11], 12
	v_lshlrev_b32_e32 v29, 6, v28
	v_add_co_u32 v2, vcc_lo, v2, s10
	v_add_co_ci_u32_e32 v3, vcc_lo, s11, v3, vcc_lo
	s_mov_b32 s12, 0
	v_add_co_u32 v10, vcc_lo, v2, v29
	s_mov_b32 s13, s12
	s_mov_b32 s14, s12
	;; [unrolled: 1-line block ×3, first 2 shown]
	v_mov_b32_e32 v4, 33
	v_mov_b32_e32 v6, v5
	;; [unrolled: 1-line block ×3, first 2 shown]
	v_readfirstlane_b32 s10, v2
	v_readfirstlane_b32 s11, v3
	v_mov_b32_e32 v12, s12
	v_add_co_ci_u32_e32 v11, vcc_lo, 0, v3, vcc_lo
	v_mov_b32_e32 v13, s13
	v_mov_b32_e32 v14, s14
	v_mov_b32_e32 v15, s15
	global_store_dwordx4 v29, v[4:7], s[10:11]
	global_store_dwordx4 v29, v[12:15], s[10:11] offset:16
	global_store_dwordx4 v29, v[12:15], s[10:11] offset:32
	;; [unrolled: 1-line block ×3, first 2 shown]
	s_and_saveexec_b32 s5, s4
	s_cbranch_execz .LBB1_17
; %bb.10:
	v_mov_b32_e32 v6, 0
	v_mov_b32_e32 v12, s8
	;; [unrolled: 1-line block ×3, first 2 shown]
	s_mov_b32 s10, exec_lo
	s_clause 0x1
	global_load_dwordx2 v[14:15], v6, s[6:7] offset:32 glc dlc
	global_load_dwordx2 v[2:3], v6, s[6:7] offset:40
	s_waitcnt vmcnt(0)
	v_and_b32_e32 v3, s9, v3
	v_and_b32_e32 v2, s8, v2
	v_mul_lo_u32 v3, v3, 24
	v_mul_hi_u32 v4, v2, 24
	v_mul_lo_u32 v2, v2, 24
	v_add_nc_u32_e32 v3, v4, v3
	v_add_co_u32 v4, vcc_lo, v0, v2
	v_add_co_ci_u32_e32 v5, vcc_lo, v1, v3, vcc_lo
	global_store_dwordx2 v[4:5], v[14:15], off
	s_waitcnt_vscnt null, 0x0
	global_atomic_cmpswap_x2 v[2:3], v6, v[12:15], s[6:7] offset:32 glc
	s_waitcnt vmcnt(0)
	v_cmpx_ne_u64_e64 v[2:3], v[14:15]
	s_cbranch_execz .LBB1_13
; %bb.11:
	s_mov_b32 s11, 0
.LBB1_12:                               ; =>This Inner Loop Header: Depth=1
	v_mov_b32_e32 v0, s8
	v_mov_b32_e32 v1, s9
	s_sleep 1
	global_store_dwordx2 v[4:5], v[2:3], off
	s_waitcnt_vscnt null, 0x0
	global_atomic_cmpswap_x2 v[0:1], v6, v[0:3], s[6:7] offset:32 glc
	s_waitcnt vmcnt(0)
	v_cmp_eq_u64_e32 vcc_lo, v[0:1], v[2:3]
	v_mov_b32_e32 v3, v1
	v_mov_b32_e32 v2, v0
	s_or_b32 s11, vcc_lo, s11
	s_andn2_b32 exec_lo, exec_lo, s11
	s_cbranch_execnz .LBB1_12
.LBB1_13:
	s_or_b32 exec_lo, exec_lo, s10
	v_mov_b32_e32 v3, 0
	s_mov_b32 s11, exec_lo
	s_mov_b32 s10, exec_lo
	v_mbcnt_lo_u32_b32 v2, s11, 0
	global_load_dwordx2 v[0:1], v3, s[6:7] offset:16
	v_cmpx_eq_u32_e32 0, v2
	s_cbranch_execz .LBB1_15
; %bb.14:
	s_bcnt1_i32_b32 s11, s11
	v_mov_b32_e32 v2, s11
	s_waitcnt vmcnt(0)
	global_atomic_add_x2 v[0:1], v[2:3], off offset:8
.LBB1_15:
	s_or_b32 exec_lo, exec_lo, s10
	s_waitcnt vmcnt(0)
	global_load_dwordx2 v[2:3], v[0:1], off offset:16
	s_waitcnt vmcnt(0)
	v_cmp_eq_u64_e32 vcc_lo, 0, v[2:3]
	s_cbranch_vccnz .LBB1_17
; %bb.16:
	global_load_dword v0, v[0:1], off offset:24
	v_mov_b32_e32 v1, 0
	s_waitcnt vmcnt(0)
	v_and_b32_e32 v4, 0x7fffff, v0
	s_waitcnt_vscnt null, 0x0
	global_store_dwordx2 v[2:3], v[0:1], off
	v_readfirstlane_b32 m0, v4
	s_sendmsg sendmsg(MSG_INTERRUPT)
.LBB1_17:
	s_or_b32 exec_lo, exec_lo, s5
	s_branch .LBB1_21
	.p2align	6
.LBB1_18:                               ;   in Loop: Header=BB1_21 Depth=1
	s_or_b32 exec_lo, exec_lo, s5
	v_readfirstlane_b32 s5, v0
	s_cmp_eq_u32 s5, 0
	s_cbranch_scc1 .LBB1_20
; %bb.19:                               ;   in Loop: Header=BB1_21 Depth=1
	s_sleep 1
	s_cbranch_execnz .LBB1_21
	s_branch .LBB1_23
	.p2align	6
.LBB1_20:
	s_branch .LBB1_23
.LBB1_21:                               ; =>This Inner Loop Header: Depth=1
	v_mov_b32_e32 v0, 1
	s_and_saveexec_b32 s5, s4
	s_cbranch_execz .LBB1_18
; %bb.22:                               ;   in Loop: Header=BB1_21 Depth=1
	global_load_dword v0, v[8:9], off offset:20 glc dlc
	s_waitcnt vmcnt(0)
	buffer_gl1_inv
	buffer_gl0_inv
	v_and_b32_e32 v0, 1, v0
	s_branch .LBB1_18
.LBB1_23:
	global_load_dwordx2 v[0:1], v[10:11], off
	s_and_saveexec_b32 s5, s4
	s_cbranch_execz .LBB1_27
; %bb.24:
	v_mov_b32_e32 v8, 0
	s_clause 0x2
	global_load_dwordx2 v[4:5], v8, s[6:7] offset:40
	global_load_dwordx2 v[9:10], v8, s[6:7] offset:24 glc dlc
	global_load_dwordx2 v[6:7], v8, s[6:7]
	s_waitcnt vmcnt(2)
	v_add_co_u32 v11, vcc_lo, v4, 1
	v_add_co_ci_u32_e32 v12, vcc_lo, 0, v5, vcc_lo
	v_add_co_u32 v2, vcc_lo, v11, s8
	v_add_co_ci_u32_e32 v3, vcc_lo, s9, v12, vcc_lo
	v_cmp_eq_u64_e32 vcc_lo, 0, v[2:3]
	v_cndmask_b32_e32 v3, v3, v12, vcc_lo
	v_cndmask_b32_e32 v2, v2, v11, vcc_lo
	v_and_b32_e32 v5, v3, v5
	v_and_b32_e32 v4, v2, v4
	v_mul_lo_u32 v5, v5, 24
	v_mul_hi_u32 v11, v4, 24
	v_mul_lo_u32 v4, v4, 24
	v_add_nc_u32_e32 v5, v11, v5
	s_waitcnt vmcnt(0)
	v_add_co_u32 v6, vcc_lo, v6, v4
	v_mov_b32_e32 v4, v9
	v_add_co_ci_u32_e32 v7, vcc_lo, v7, v5, vcc_lo
	v_mov_b32_e32 v5, v10
	global_store_dwordx2 v[6:7], v[9:10], off
	s_waitcnt_vscnt null, 0x0
	global_atomic_cmpswap_x2 v[4:5], v8, v[2:5], s[6:7] offset:24 glc
	s_waitcnt vmcnt(0)
	v_cmp_ne_u64_e32 vcc_lo, v[4:5], v[9:10]
	s_and_b32 exec_lo, exec_lo, vcc_lo
	s_cbranch_execz .LBB1_27
; %bb.25:
	s_mov_b32 s4, 0
.LBB1_26:                               ; =>This Inner Loop Header: Depth=1
	s_sleep 1
	global_store_dwordx2 v[6:7], v[4:5], off
	s_waitcnt_vscnt null, 0x0
	global_atomic_cmpswap_x2 v[9:10], v8, v[2:5], s[6:7] offset:24 glc
	s_waitcnt vmcnt(0)
	v_cmp_eq_u64_e32 vcc_lo, v[9:10], v[4:5]
	v_mov_b32_e32 v4, v9
	v_mov_b32_e32 v5, v10
	s_or_b32 s4, vcc_lo, s4
	s_andn2_b32 exec_lo, exec_lo, s4
	s_cbranch_execnz .LBB1_26
.LBB1_27:
	s_or_b32 exec_lo, exec_lo, s5
	s_getpc_b64 s[8:9]
	s_add_u32 s8, s8, .str.11@rel32@lo+4
	s_addc_u32 s9, s9, .str.11@rel32@hi+12
	s_cmp_lg_u64 s[8:9], 0
	s_cbranch_scc0 .LBB1_212
; %bb.28:
	s_waitcnt vmcnt(0)
	v_and_b32_e32 v6, -3, v0
	v_mov_b32_e32 v7, v1
	v_mov_b32_e32 v3, 0
	;; [unrolled: 1-line block ×4, first 2 shown]
	s_mov_b64 s[10:11], 6
	s_branch .LBB1_30
.LBB1_29:                               ;   in Loop: Header=BB1_30 Depth=1
	s_or_b32 exec_lo, exec_lo, s5
	s_sub_u32 s10, s10, s12
	s_subb_u32 s11, s11, s13
	s_add_u32 s8, s8, s12
	s_addc_u32 s9, s9, s13
	s_cmp_lg_u64 s[10:11], 0
	s_cbranch_scc0 .LBB1_105
.LBB1_30:                               ; =>This Loop Header: Depth=1
                                        ;     Child Loop BB1_39 Depth 2
                                        ;     Child Loop BB1_35 Depth 2
	;; [unrolled: 1-line block ×11, first 2 shown]
	v_cmp_lt_u64_e64 s4, s[10:11], 56
	v_cmp_gt_u64_e64 s5, s[10:11], 7
                                        ; implicit-def: $sgpr19
	s_and_b32 s4, s4, exec_lo
	s_cselect_b32 s13, s11, 0
	s_cselect_b32 s12, s10, 56
	s_and_b32 vcc_lo, exec_lo, s5
	s_mov_b32 s4, -1
	s_cbranch_vccz .LBB1_37
; %bb.31:                               ;   in Loop: Header=BB1_30 Depth=1
	s_andn2_b32 vcc_lo, exec_lo, s4
	s_mov_b64 s[4:5], s[8:9]
	s_cbranch_vccz .LBB1_41
.LBB1_32:                               ;   in Loop: Header=BB1_30 Depth=1
	s_cmp_gt_u32 s19, 7
	s_cbranch_scc1 .LBB1_42
.LBB1_33:                               ;   in Loop: Header=BB1_30 Depth=1
	v_mov_b32_e32 v10, 0
	v_mov_b32_e32 v11, 0
	s_cmp_eq_u32 s19, 0
	s_cbranch_scc1 .LBB1_36
; %bb.34:                               ;   in Loop: Header=BB1_30 Depth=1
	s_mov_b64 s[14:15], 0
	s_mov_b64 s[16:17], 0
.LBB1_35:                               ;   Parent Loop BB1_30 Depth=1
                                        ; =>  This Inner Loop Header: Depth=2
	s_add_u32 s20, s4, s16
	s_addc_u32 s21, s5, s17
	s_add_u32 s16, s16, 1
	global_load_ubyte v2, v3, s[20:21]
	s_addc_u32 s17, s17, 0
	s_waitcnt vmcnt(0)
	v_and_b32_e32 v2, 0xffff, v2
	v_lshlrev_b64 v[12:13], s14, v[2:3]
	s_add_u32 s14, s14, 8
	s_addc_u32 s15, s15, 0
	s_cmp_lg_u32 s19, s16
	v_or_b32_e32 v10, v12, v10
	v_or_b32_e32 v11, v13, v11
	s_cbranch_scc1 .LBB1_35
.LBB1_36:                               ;   in Loop: Header=BB1_30 Depth=1
	s_mov_b32 s20, 0
	s_cbranch_execz .LBB1_43
	s_branch .LBB1_44
.LBB1_37:                               ;   in Loop: Header=BB1_30 Depth=1
	s_waitcnt vmcnt(0)
	v_mov_b32_e32 v8, 0
	v_mov_b32_e32 v9, 0
	s_cmp_eq_u64 s[10:11], 0
	s_mov_b64 s[4:5], 0
	s_cbranch_scc1 .LBB1_40
; %bb.38:                               ;   in Loop: Header=BB1_30 Depth=1
	v_mov_b32_e32 v8, 0
	v_mov_b32_e32 v9, 0
	s_lshl_b64 s[14:15], s[12:13], 3
	s_mov_b64 s[16:17], s[8:9]
.LBB1_39:                               ;   Parent Loop BB1_30 Depth=1
                                        ; =>  This Inner Loop Header: Depth=2
	global_load_ubyte v2, v3, s[16:17]
	s_waitcnt vmcnt(0)
	v_and_b32_e32 v2, 0xffff, v2
	v_lshlrev_b64 v[10:11], s4, v[2:3]
	s_add_u32 s4, s4, 8
	s_addc_u32 s5, s5, 0
	s_add_u32 s16, s16, 1
	s_addc_u32 s17, s17, 0
	s_cmp_lg_u32 s14, s4
	v_or_b32_e32 v8, v10, v8
	v_or_b32_e32 v9, v11, v9
	s_cbranch_scc1 .LBB1_39
.LBB1_40:                               ;   in Loop: Header=BB1_30 Depth=1
	s_mov_b32 s19, 0
	s_mov_b64 s[4:5], s[8:9]
	s_cbranch_execnz .LBB1_32
.LBB1_41:                               ;   in Loop: Header=BB1_30 Depth=1
	global_load_dwordx2 v[8:9], v3, s[8:9]
	s_add_i32 s19, s12, -8
	s_add_u32 s4, s8, 8
	s_addc_u32 s5, s9, 0
	s_cmp_gt_u32 s19, 7
	s_cbranch_scc0 .LBB1_33
.LBB1_42:                               ;   in Loop: Header=BB1_30 Depth=1
                                        ; implicit-def: $vgpr10_vgpr11
                                        ; implicit-def: $sgpr20
.LBB1_43:                               ;   in Loop: Header=BB1_30 Depth=1
	global_load_dwordx2 v[10:11], v3, s[4:5]
	s_add_i32 s20, s19, -8
	s_add_u32 s4, s4, 8
	s_addc_u32 s5, s5, 0
.LBB1_44:                               ;   in Loop: Header=BB1_30 Depth=1
	s_cmp_gt_u32 s20, 7
	s_cbranch_scc1 .LBB1_49
; %bb.45:                               ;   in Loop: Header=BB1_30 Depth=1
	v_mov_b32_e32 v12, 0
	v_mov_b32_e32 v13, 0
	s_cmp_eq_u32 s20, 0
	s_cbranch_scc1 .LBB1_48
; %bb.46:                               ;   in Loop: Header=BB1_30 Depth=1
	s_mov_b64 s[14:15], 0
	s_mov_b64 s[16:17], 0
.LBB1_47:                               ;   Parent Loop BB1_30 Depth=1
                                        ; =>  This Inner Loop Header: Depth=2
	s_add_u32 s22, s4, s16
	s_addc_u32 s23, s5, s17
	s_add_u32 s16, s16, 1
	global_load_ubyte v2, v3, s[22:23]
	s_addc_u32 s17, s17, 0
	s_waitcnt vmcnt(0)
	v_and_b32_e32 v2, 0xffff, v2
	v_lshlrev_b64 v[14:15], s14, v[2:3]
	s_add_u32 s14, s14, 8
	s_addc_u32 s15, s15, 0
	s_cmp_lg_u32 s20, s16
	v_or_b32_e32 v12, v14, v12
	v_or_b32_e32 v13, v15, v13
	s_cbranch_scc1 .LBB1_47
.LBB1_48:                               ;   in Loop: Header=BB1_30 Depth=1
	s_mov_b32 s19, 0
	s_cbranch_execz .LBB1_50
	s_branch .LBB1_51
.LBB1_49:                               ;   in Loop: Header=BB1_30 Depth=1
                                        ; implicit-def: $sgpr19
.LBB1_50:                               ;   in Loop: Header=BB1_30 Depth=1
	global_load_dwordx2 v[12:13], v3, s[4:5]
	s_add_i32 s19, s20, -8
	s_add_u32 s4, s4, 8
	s_addc_u32 s5, s5, 0
.LBB1_51:                               ;   in Loop: Header=BB1_30 Depth=1
	s_cmp_gt_u32 s19, 7
	s_cbranch_scc1 .LBB1_56
; %bb.52:                               ;   in Loop: Header=BB1_30 Depth=1
	v_mov_b32_e32 v14, 0
	v_mov_b32_e32 v15, 0
	s_cmp_eq_u32 s19, 0
	s_cbranch_scc1 .LBB1_55
; %bb.53:                               ;   in Loop: Header=BB1_30 Depth=1
	s_mov_b64 s[14:15], 0
	s_mov_b64 s[16:17], 0
.LBB1_54:                               ;   Parent Loop BB1_30 Depth=1
                                        ; =>  This Inner Loop Header: Depth=2
	s_add_u32 s20, s4, s16
	s_addc_u32 s21, s5, s17
	s_add_u32 s16, s16, 1
	global_load_ubyte v2, v3, s[20:21]
	s_addc_u32 s17, s17, 0
	s_waitcnt vmcnt(0)
	v_and_b32_e32 v2, 0xffff, v2
	v_lshlrev_b64 v[16:17], s14, v[2:3]
	s_add_u32 s14, s14, 8
	s_addc_u32 s15, s15, 0
	s_cmp_lg_u32 s19, s16
	v_or_b32_e32 v14, v16, v14
	v_or_b32_e32 v15, v17, v15
	s_cbranch_scc1 .LBB1_54
.LBB1_55:                               ;   in Loop: Header=BB1_30 Depth=1
	s_mov_b32 s20, 0
	s_cbranch_execz .LBB1_57
	s_branch .LBB1_58
.LBB1_56:                               ;   in Loop: Header=BB1_30 Depth=1
                                        ; implicit-def: $vgpr14_vgpr15
                                        ; implicit-def: $sgpr20
.LBB1_57:                               ;   in Loop: Header=BB1_30 Depth=1
	global_load_dwordx2 v[14:15], v3, s[4:5]
	s_add_i32 s20, s19, -8
	s_add_u32 s4, s4, 8
	s_addc_u32 s5, s5, 0
.LBB1_58:                               ;   in Loop: Header=BB1_30 Depth=1
	s_cmp_gt_u32 s20, 7
	s_cbranch_scc1 .LBB1_63
; %bb.59:                               ;   in Loop: Header=BB1_30 Depth=1
	v_mov_b32_e32 v16, 0
	v_mov_b32_e32 v17, 0
	s_cmp_eq_u32 s20, 0
	s_cbranch_scc1 .LBB1_62
; %bb.60:                               ;   in Loop: Header=BB1_30 Depth=1
	s_mov_b64 s[14:15], 0
	s_mov_b64 s[16:17], 0
.LBB1_61:                               ;   Parent Loop BB1_30 Depth=1
                                        ; =>  This Inner Loop Header: Depth=2
	s_add_u32 s22, s4, s16
	s_addc_u32 s23, s5, s17
	s_add_u32 s16, s16, 1
	global_load_ubyte v2, v3, s[22:23]
	s_addc_u32 s17, s17, 0
	s_waitcnt vmcnt(0)
	v_and_b32_e32 v2, 0xffff, v2
	v_lshlrev_b64 v[18:19], s14, v[2:3]
	s_add_u32 s14, s14, 8
	s_addc_u32 s15, s15, 0
	s_cmp_lg_u32 s20, s16
	v_or_b32_e32 v16, v18, v16
	v_or_b32_e32 v17, v19, v17
	s_cbranch_scc1 .LBB1_61
.LBB1_62:                               ;   in Loop: Header=BB1_30 Depth=1
	s_mov_b32 s19, 0
	s_cbranch_execz .LBB1_64
	s_branch .LBB1_65
.LBB1_63:                               ;   in Loop: Header=BB1_30 Depth=1
                                        ; implicit-def: $sgpr19
.LBB1_64:                               ;   in Loop: Header=BB1_30 Depth=1
	global_load_dwordx2 v[16:17], v3, s[4:5]
	s_add_i32 s19, s20, -8
	s_add_u32 s4, s4, 8
	s_addc_u32 s5, s5, 0
.LBB1_65:                               ;   in Loop: Header=BB1_30 Depth=1
	s_cmp_gt_u32 s19, 7
	s_cbranch_scc1 .LBB1_70
; %bb.66:                               ;   in Loop: Header=BB1_30 Depth=1
	v_mov_b32_e32 v18, 0
	v_mov_b32_e32 v19, 0
	s_cmp_eq_u32 s19, 0
	s_cbranch_scc1 .LBB1_69
; %bb.67:                               ;   in Loop: Header=BB1_30 Depth=1
	s_mov_b64 s[14:15], 0
	s_mov_b64 s[16:17], 0
.LBB1_68:                               ;   Parent Loop BB1_30 Depth=1
                                        ; =>  This Inner Loop Header: Depth=2
	s_add_u32 s20, s4, s16
	s_addc_u32 s21, s5, s17
	s_add_u32 s16, s16, 1
	global_load_ubyte v2, v3, s[20:21]
	s_addc_u32 s17, s17, 0
	s_waitcnt vmcnt(0)
	v_and_b32_e32 v2, 0xffff, v2
	v_lshlrev_b64 v[20:21], s14, v[2:3]
	s_add_u32 s14, s14, 8
	s_addc_u32 s15, s15, 0
	s_cmp_lg_u32 s19, s16
	v_or_b32_e32 v18, v20, v18
	v_or_b32_e32 v19, v21, v19
	s_cbranch_scc1 .LBB1_68
.LBB1_69:                               ;   in Loop: Header=BB1_30 Depth=1
	s_mov_b32 s20, 0
	s_cbranch_execz .LBB1_71
	s_branch .LBB1_72
.LBB1_70:                               ;   in Loop: Header=BB1_30 Depth=1
                                        ; implicit-def: $vgpr18_vgpr19
                                        ; implicit-def: $sgpr20
.LBB1_71:                               ;   in Loop: Header=BB1_30 Depth=1
	global_load_dwordx2 v[18:19], v3, s[4:5]
	s_add_i32 s20, s19, -8
	s_add_u32 s4, s4, 8
	s_addc_u32 s5, s5, 0
.LBB1_72:                               ;   in Loop: Header=BB1_30 Depth=1
	s_cmp_gt_u32 s20, 7
	s_cbranch_scc1 .LBB1_77
; %bb.73:                               ;   in Loop: Header=BB1_30 Depth=1
	v_mov_b32_e32 v20, 0
	v_mov_b32_e32 v21, 0
	s_cmp_eq_u32 s20, 0
	s_cbranch_scc1 .LBB1_76
; %bb.74:                               ;   in Loop: Header=BB1_30 Depth=1
	s_mov_b64 s[14:15], 0
	s_mov_b64 s[16:17], s[4:5]
.LBB1_75:                               ;   Parent Loop BB1_30 Depth=1
                                        ; =>  This Inner Loop Header: Depth=2
	global_load_ubyte v2, v3, s[16:17]
	s_add_i32 s20, s20, -1
	s_waitcnt vmcnt(0)
	v_and_b32_e32 v2, 0xffff, v2
	v_lshlrev_b64 v[22:23], s14, v[2:3]
	s_add_u32 s14, s14, 8
	s_addc_u32 s15, s15, 0
	s_add_u32 s16, s16, 1
	s_addc_u32 s17, s17, 0
	s_cmp_lg_u32 s20, 0
	v_or_b32_e32 v20, v22, v20
	v_or_b32_e32 v21, v23, v21
	s_cbranch_scc1 .LBB1_75
.LBB1_76:                               ;   in Loop: Header=BB1_30 Depth=1
	s_cbranch_execz .LBB1_78
	s_branch .LBB1_79
.LBB1_77:                               ;   in Loop: Header=BB1_30 Depth=1
.LBB1_78:                               ;   in Loop: Header=BB1_30 Depth=1
	global_load_dwordx2 v[20:21], v3, s[4:5]
.LBB1_79:                               ;   in Loop: Header=BB1_30 Depth=1
	v_readfirstlane_b32 s4, v28
	v_mov_b32_e32 v26, 0
	v_mov_b32_e32 v27, 0
	v_cmp_eq_u32_e64 s4, s4, v28
	s_and_saveexec_b32 s5, s4
	s_cbranch_execz .LBB1_85
; %bb.80:                               ;   in Loop: Header=BB1_30 Depth=1
	global_load_dwordx2 v[24:25], v3, s[6:7] offset:24 glc dlc
	s_waitcnt vmcnt(0)
	buffer_gl1_inv
	buffer_gl0_inv
	s_clause 0x1
	global_load_dwordx2 v[22:23], v3, s[6:7] offset:40
	global_load_dwordx2 v[26:27], v3, s[6:7]
	s_mov_b32 s14, exec_lo
	s_waitcnt vmcnt(1)
	v_and_b32_e32 v2, v23, v25
	v_and_b32_e32 v22, v22, v24
	v_mul_lo_u32 v2, v2, 24
	v_mul_hi_u32 v23, v22, 24
	v_mul_lo_u32 v22, v22, 24
	v_add_nc_u32_e32 v2, v23, v2
	s_waitcnt vmcnt(0)
	v_add_co_u32 v22, vcc_lo, v26, v22
	v_add_co_ci_u32_e32 v23, vcc_lo, v27, v2, vcc_lo
	global_load_dwordx2 v[22:23], v[22:23], off glc dlc
	s_waitcnt vmcnt(0)
	global_atomic_cmpswap_x2 v[26:27], v3, v[22:25], s[6:7] offset:24 glc
	s_waitcnt vmcnt(0)
	buffer_gl1_inv
	buffer_gl0_inv
	v_cmpx_ne_u64_e64 v[26:27], v[24:25]
	s_cbranch_execz .LBB1_84
; %bb.81:                               ;   in Loop: Header=BB1_30 Depth=1
	s_mov_b32 s15, 0
	.p2align	6
.LBB1_82:                               ;   Parent Loop BB1_30 Depth=1
                                        ; =>  This Inner Loop Header: Depth=2
	s_sleep 1
	s_clause 0x1
	global_load_dwordx2 v[22:23], v3, s[6:7] offset:40
	global_load_dwordx2 v[30:31], v3, s[6:7]
	v_mov_b32_e32 v24, v26
	v_mov_b32_e32 v25, v27
	s_waitcnt vmcnt(1)
	v_and_b32_e32 v2, v22, v24
	v_and_b32_e32 v22, v23, v25
	s_waitcnt vmcnt(0)
	v_mad_u64_u32 v[26:27], null, v2, 24, v[30:31]
	v_mov_b32_e32 v2, v27
	v_mad_u64_u32 v[22:23], null, v22, 24, v[2:3]
	v_mov_b32_e32 v27, v22
	global_load_dwordx2 v[22:23], v[26:27], off glc dlc
	s_waitcnt vmcnt(0)
	global_atomic_cmpswap_x2 v[26:27], v3, v[22:25], s[6:7] offset:24 glc
	s_waitcnt vmcnt(0)
	buffer_gl1_inv
	buffer_gl0_inv
	v_cmp_eq_u64_e32 vcc_lo, v[26:27], v[24:25]
	s_or_b32 s15, vcc_lo, s15
	s_andn2_b32 exec_lo, exec_lo, s15
	s_cbranch_execnz .LBB1_82
; %bb.83:                               ;   in Loop: Header=BB1_30 Depth=1
	s_or_b32 exec_lo, exec_lo, s15
.LBB1_84:                               ;   in Loop: Header=BB1_30 Depth=1
	s_or_b32 exec_lo, exec_lo, s14
.LBB1_85:                               ;   in Loop: Header=BB1_30 Depth=1
	s_or_b32 exec_lo, exec_lo, s5
	s_clause 0x1
	global_load_dwordx2 v[30:31], v3, s[6:7] offset:40
	global_load_dwordx4 v[22:25], v3, s[6:7]
	v_readfirstlane_b32 s14, v26
	v_readfirstlane_b32 s15, v27
	s_mov_b32 s5, exec_lo
	s_waitcnt vmcnt(1)
	v_readfirstlane_b32 s16, v30
	v_readfirstlane_b32 s17, v31
	s_and_b64 s[16:17], s[14:15], s[16:17]
	s_mul_i32 s19, s17, 24
	s_mul_hi_u32 s20, s16, 24
	s_mul_i32 s21, s16, 24
	s_add_i32 s20, s20, s19
	s_waitcnt vmcnt(0)
	v_add_co_u32 v26, vcc_lo, v22, s21
	v_add_co_ci_u32_e32 v27, vcc_lo, s20, v23, vcc_lo
	s_and_saveexec_b32 s19, s4
	s_cbranch_execz .LBB1_87
; %bb.86:                               ;   in Loop: Header=BB1_30 Depth=1
	v_mov_b32_e32 v2, s5
	global_store_dwordx4 v[26:27], v[2:5], off offset:8
.LBB1_87:                               ;   in Loop: Header=BB1_30 Depth=1
	s_or_b32 exec_lo, exec_lo, s19
	s_lshl_b64 s[16:17], s[16:17], 12
	v_or_b32_e32 v2, 2, v6
	v_add_co_u32 v24, vcc_lo, v24, s16
	v_add_co_ci_u32_e32 v25, vcc_lo, s17, v25, vcc_lo
	v_cmp_gt_u64_e64 vcc_lo, s[10:11], 56
	s_lshl_b32 s5, s12, 2
	v_readfirstlane_b32 s16, v24
	s_add_i32 s5, s5, 28
	v_readfirstlane_b32 s17, v25
	s_and_b32 s5, s5, 0x1e0
	v_cndmask_b32_e32 v2, v2, v6, vcc_lo
	v_and_or_b32 v6, 0xffffff1f, v2, s5
	global_store_dwordx4 v29, v[10:13], s[16:17] offset:16
	global_store_dwordx4 v29, v[6:9], s[16:17]
	global_store_dwordx4 v29, v[14:17], s[16:17] offset:32
	global_store_dwordx4 v29, v[18:21], s[16:17] offset:48
	s_and_saveexec_b32 s5, s4
	s_cbranch_execz .LBB1_95
; %bb.88:                               ;   in Loop: Header=BB1_30 Depth=1
	s_clause 0x1
	global_load_dwordx2 v[14:15], v3, s[6:7] offset:32 glc dlc
	global_load_dwordx2 v[6:7], v3, s[6:7] offset:40
	v_mov_b32_e32 v12, s14
	v_mov_b32_e32 v13, s15
	s_waitcnt vmcnt(0)
	v_readfirstlane_b32 s16, v6
	v_readfirstlane_b32 s17, v7
	s_and_b64 s[16:17], s[16:17], s[14:15]
	s_mul_i32 s17, s17, 24
	s_mul_hi_u32 s19, s16, 24
	s_mul_i32 s16, s16, 24
	s_add_i32 s19, s19, s17
	v_add_co_u32 v10, vcc_lo, v22, s16
	v_add_co_ci_u32_e32 v11, vcc_lo, s19, v23, vcc_lo
	s_mov_b32 s16, exec_lo
	global_store_dwordx2 v[10:11], v[14:15], off
	s_waitcnt_vscnt null, 0x0
	global_atomic_cmpswap_x2 v[8:9], v3, v[12:15], s[6:7] offset:32 glc
	s_waitcnt vmcnt(0)
	v_cmpx_ne_u64_e64 v[8:9], v[14:15]
	s_cbranch_execz .LBB1_91
; %bb.89:                               ;   in Loop: Header=BB1_30 Depth=1
	s_mov_b32 s17, 0
.LBB1_90:                               ;   Parent Loop BB1_30 Depth=1
                                        ; =>  This Inner Loop Header: Depth=2
	v_mov_b32_e32 v6, s14
	v_mov_b32_e32 v7, s15
	s_sleep 1
	global_store_dwordx2 v[10:11], v[8:9], off
	s_waitcnt_vscnt null, 0x0
	global_atomic_cmpswap_x2 v[6:7], v3, v[6:9], s[6:7] offset:32 glc
	s_waitcnt vmcnt(0)
	v_cmp_eq_u64_e32 vcc_lo, v[6:7], v[8:9]
	v_mov_b32_e32 v9, v7
	v_mov_b32_e32 v8, v6
	s_or_b32 s17, vcc_lo, s17
	s_andn2_b32 exec_lo, exec_lo, s17
	s_cbranch_execnz .LBB1_90
.LBB1_91:                               ;   in Loop: Header=BB1_30 Depth=1
	s_or_b32 exec_lo, exec_lo, s16
	global_load_dwordx2 v[6:7], v3, s[6:7] offset:16
	s_mov_b32 s17, exec_lo
	s_mov_b32 s16, exec_lo
	v_mbcnt_lo_u32_b32 v2, s17, 0
	v_cmpx_eq_u32_e32 0, v2
	s_cbranch_execz .LBB1_93
; %bb.92:                               ;   in Loop: Header=BB1_30 Depth=1
	s_bcnt1_i32_b32 s17, s17
	v_mov_b32_e32 v2, s17
	s_waitcnt vmcnt(0)
	global_atomic_add_x2 v[6:7], v[2:3], off offset:8
.LBB1_93:                               ;   in Loop: Header=BB1_30 Depth=1
	s_or_b32 exec_lo, exec_lo, s16
	s_waitcnt vmcnt(0)
	global_load_dwordx2 v[8:9], v[6:7], off offset:16
	s_waitcnt vmcnt(0)
	v_cmp_eq_u64_e32 vcc_lo, 0, v[8:9]
	s_cbranch_vccnz .LBB1_95
; %bb.94:                               ;   in Loop: Header=BB1_30 Depth=1
	global_load_dword v2, v[6:7], off offset:24
	s_waitcnt vmcnt(0)
	v_and_b32_e32 v6, 0x7fffff, v2
	s_waitcnt_vscnt null, 0x0
	global_store_dwordx2 v[8:9], v[2:3], off
	v_readfirstlane_b32 m0, v6
	s_sendmsg sendmsg(MSG_INTERRUPT)
.LBB1_95:                               ;   in Loop: Header=BB1_30 Depth=1
	s_or_b32 exec_lo, exec_lo, s5
	v_add_co_u32 v6, vcc_lo, v24, v29
	v_add_co_ci_u32_e32 v7, vcc_lo, 0, v25, vcc_lo
	s_branch .LBB1_99
	.p2align	6
.LBB1_96:                               ;   in Loop: Header=BB1_99 Depth=2
	s_or_b32 exec_lo, exec_lo, s5
	v_readfirstlane_b32 s5, v2
	s_cmp_eq_u32 s5, 0
	s_cbranch_scc1 .LBB1_98
; %bb.97:                               ;   in Loop: Header=BB1_99 Depth=2
	s_sleep 1
	s_cbranch_execnz .LBB1_99
	s_branch .LBB1_101
	.p2align	6
.LBB1_98:                               ;   in Loop: Header=BB1_30 Depth=1
	s_branch .LBB1_101
.LBB1_99:                               ;   Parent Loop BB1_30 Depth=1
                                        ; =>  This Inner Loop Header: Depth=2
	v_mov_b32_e32 v2, 1
	s_and_saveexec_b32 s5, s4
	s_cbranch_execz .LBB1_96
; %bb.100:                              ;   in Loop: Header=BB1_99 Depth=2
	global_load_dword v2, v[26:27], off offset:20 glc dlc
	s_waitcnt vmcnt(0)
	buffer_gl1_inv
	buffer_gl0_inv
	v_and_b32_e32 v2, 1, v2
	s_branch .LBB1_96
.LBB1_101:                              ;   in Loop: Header=BB1_30 Depth=1
	global_load_dwordx4 v[6:9], v[6:7], off
	s_and_saveexec_b32 s5, s4
	s_cbranch_execz .LBB1_29
; %bb.102:                              ;   in Loop: Header=BB1_30 Depth=1
	s_clause 0x2
	global_load_dwordx2 v[10:11], v3, s[6:7] offset:40
	global_load_dwordx2 v[14:15], v3, s[6:7] offset:24 glc dlc
	global_load_dwordx2 v[12:13], v3, s[6:7]
	s_waitcnt vmcnt(2)
	v_add_co_u32 v2, vcc_lo, v10, 1
	v_add_co_ci_u32_e32 v16, vcc_lo, 0, v11, vcc_lo
	v_add_co_u32 v8, vcc_lo, v2, s14
	v_add_co_ci_u32_e32 v9, vcc_lo, s15, v16, vcc_lo
	v_cmp_eq_u64_e32 vcc_lo, 0, v[8:9]
	v_cndmask_b32_e32 v9, v9, v16, vcc_lo
	v_cndmask_b32_e32 v8, v8, v2, vcc_lo
	v_and_b32_e32 v2, v9, v11
	v_and_b32_e32 v10, v8, v10
	v_mul_lo_u32 v2, v2, 24
	v_mul_hi_u32 v11, v10, 24
	v_mul_lo_u32 v10, v10, 24
	v_add_nc_u32_e32 v2, v11, v2
	s_waitcnt vmcnt(0)
	v_add_co_u32 v12, vcc_lo, v12, v10
	v_mov_b32_e32 v10, v14
	v_mov_b32_e32 v11, v15
	v_add_co_ci_u32_e32 v13, vcc_lo, v13, v2, vcc_lo
	global_store_dwordx2 v[12:13], v[14:15], off
	s_waitcnt_vscnt null, 0x0
	global_atomic_cmpswap_x2 v[10:11], v3, v[8:11], s[6:7] offset:24 glc
	s_waitcnt vmcnt(0)
	v_cmp_ne_u64_e32 vcc_lo, v[10:11], v[14:15]
	s_and_b32 exec_lo, exec_lo, vcc_lo
	s_cbranch_execz .LBB1_29
; %bb.103:                              ;   in Loop: Header=BB1_30 Depth=1
	s_mov_b32 s4, 0
.LBB1_104:                              ;   Parent Loop BB1_30 Depth=1
                                        ; =>  This Inner Loop Header: Depth=2
	s_sleep 1
	global_store_dwordx2 v[12:13], v[10:11], off
	s_waitcnt_vscnt null, 0x0
	global_atomic_cmpswap_x2 v[14:15], v3, v[8:11], s[6:7] offset:24 glc
	s_waitcnt vmcnt(0)
	v_cmp_eq_u64_e32 vcc_lo, v[14:15], v[10:11]
	v_mov_b32_e32 v10, v14
	v_mov_b32_e32 v11, v15
	s_or_b32 s4, vcc_lo, s4
	s_andn2_b32 exec_lo, exec_lo, s4
	s_cbranch_execnz .LBB1_104
	s_branch .LBB1_29
.LBB1_105:
.LBB1_106:
	s_andn2_saveexec_b32 s18, s18
	s_cbranch_execz .LBB1_263
.LBB1_107:
	v_readfirstlane_b32 s4, v28
	s_waitcnt vmcnt(0)
	v_mov_b32_e32 v6, 0
	v_mov_b32_e32 v7, 0
	v_cmp_eq_u32_e64 s4, s4, v28
	s_and_saveexec_b32 s5, s4
	s_cbranch_execz .LBB1_113
; %bb.108:
	v_mov_b32_e32 v0, 0
	s_mov_b32 s8, exec_lo
	s_waitcnt lgkmcnt(0)
	global_load_dwordx2 v[3:4], v0, s[6:7] offset:24 glc dlc
	s_waitcnt vmcnt(0)
	buffer_gl1_inv
	buffer_gl0_inv
	s_clause 0x1
	global_load_dwordx2 v[1:2], v0, s[6:7] offset:40
	global_load_dwordx2 v[5:6], v0, s[6:7]
	s_waitcnt vmcnt(1)
	v_and_b32_e32 v2, v2, v4
	v_and_b32_e32 v1, v1, v3
	v_mul_lo_u32 v2, v2, 24
	v_mul_hi_u32 v7, v1, 24
	v_mul_lo_u32 v1, v1, 24
	v_add_nc_u32_e32 v2, v7, v2
	s_waitcnt vmcnt(0)
	v_add_co_u32 v1, vcc_lo, v5, v1
	v_add_co_ci_u32_e32 v2, vcc_lo, v6, v2, vcc_lo
	global_load_dwordx2 v[1:2], v[1:2], off glc dlc
	s_waitcnt vmcnt(0)
	global_atomic_cmpswap_x2 v[6:7], v0, v[1:4], s[6:7] offset:24 glc
	s_waitcnt vmcnt(0)
	buffer_gl1_inv
	buffer_gl0_inv
	v_cmpx_ne_u64_e64 v[6:7], v[3:4]
	s_cbranch_execz .LBB1_112
; %bb.109:
	s_mov_b32 s9, 0
	.p2align	6
.LBB1_110:                              ; =>This Inner Loop Header: Depth=1
	s_sleep 1
	s_clause 0x1
	global_load_dwordx2 v[1:2], v0, s[6:7] offset:40
	global_load_dwordx2 v[8:9], v0, s[6:7]
	v_mov_b32_e32 v3, v6
	v_mov_b32_e32 v4, v7
	s_waitcnt vmcnt(1)
	v_and_b32_e32 v1, v1, v3
	v_and_b32_e32 v2, v2, v4
	s_waitcnt vmcnt(0)
	v_mad_u64_u32 v[5:6], null, v1, 24, v[8:9]
	v_mov_b32_e32 v1, v6
	v_mad_u64_u32 v[1:2], null, v2, 24, v[1:2]
	v_mov_b32_e32 v6, v1
	global_load_dwordx2 v[1:2], v[5:6], off glc dlc
	s_waitcnt vmcnt(0)
	global_atomic_cmpswap_x2 v[6:7], v0, v[1:4], s[6:7] offset:24 glc
	s_waitcnt vmcnt(0)
	buffer_gl1_inv
	buffer_gl0_inv
	v_cmp_eq_u64_e32 vcc_lo, v[6:7], v[3:4]
	s_or_b32 s9, vcc_lo, s9
	s_andn2_b32 exec_lo, exec_lo, s9
	s_cbranch_execnz .LBB1_110
; %bb.111:
	s_or_b32 exec_lo, exec_lo, s9
.LBB1_112:
	s_or_b32 exec_lo, exec_lo, s8
.LBB1_113:
	s_or_b32 exec_lo, exec_lo, s5
	v_mov_b32_e32 v5, 0
	v_readfirstlane_b32 s8, v6
	v_readfirstlane_b32 s9, v7
	s_mov_b32 s5, exec_lo
	s_waitcnt lgkmcnt(0)
	s_clause 0x1
	global_load_dwordx2 v[8:9], v5, s[6:7] offset:40
	global_load_dwordx4 v[0:3], v5, s[6:7]
	s_waitcnt vmcnt(1)
	v_readfirstlane_b32 s10, v8
	v_readfirstlane_b32 s11, v9
	s_and_b64 s[10:11], s[8:9], s[10:11]
	s_mul_i32 s12, s11, 24
	s_mul_hi_u32 s13, s10, 24
	s_mul_i32 s14, s10, 24
	s_add_i32 s13, s13, s12
	s_waitcnt vmcnt(0)
	v_add_co_u32 v8, vcc_lo, v0, s14
	v_add_co_ci_u32_e32 v9, vcc_lo, s13, v1, vcc_lo
	s_and_saveexec_b32 s12, s4
	s_cbranch_execz .LBB1_115
; %bb.114:
	v_mov_b32_e32 v4, s5
	v_mov_b32_e32 v6, 2
	;; [unrolled: 1-line block ×3, first 2 shown]
	global_store_dwordx4 v[8:9], v[4:7], off offset:8
.LBB1_115:
	s_or_b32 exec_lo, exec_lo, s12
	s_lshl_b64 s[10:11], s[10:11], 12
	v_lshlrev_b32_e32 v29, 6, v28
	v_add_co_u32 v2, vcc_lo, v2, s10
	v_add_co_ci_u32_e32 v3, vcc_lo, s11, v3, vcc_lo
	s_mov_b32 s12, 0
	v_add_co_u32 v10, vcc_lo, v2, v29
	s_mov_b32 s13, s12
	s_mov_b32 s14, s12
	s_mov_b32 s15, s12
	v_mov_b32_e32 v4, 33
	v_mov_b32_e32 v6, v5
	;; [unrolled: 1-line block ×3, first 2 shown]
	v_readfirstlane_b32 s10, v2
	v_readfirstlane_b32 s11, v3
	v_mov_b32_e32 v12, s12
	v_add_co_ci_u32_e32 v11, vcc_lo, 0, v3, vcc_lo
	v_mov_b32_e32 v13, s13
	v_mov_b32_e32 v14, s14
	;; [unrolled: 1-line block ×3, first 2 shown]
	global_store_dwordx4 v29, v[4:7], s[10:11]
	global_store_dwordx4 v29, v[12:15], s[10:11] offset:16
	global_store_dwordx4 v29, v[12:15], s[10:11] offset:32
	;; [unrolled: 1-line block ×3, first 2 shown]
	s_and_saveexec_b32 s5, s4
	s_cbranch_execz .LBB1_123
; %bb.116:
	v_mov_b32_e32 v6, 0
	v_mov_b32_e32 v12, s8
	;; [unrolled: 1-line block ×3, first 2 shown]
	s_mov_b32 s10, exec_lo
	s_clause 0x1
	global_load_dwordx2 v[14:15], v6, s[6:7] offset:32 glc dlc
	global_load_dwordx2 v[2:3], v6, s[6:7] offset:40
	s_waitcnt vmcnt(0)
	v_and_b32_e32 v3, s9, v3
	v_and_b32_e32 v2, s8, v2
	v_mul_lo_u32 v3, v3, 24
	v_mul_hi_u32 v4, v2, 24
	v_mul_lo_u32 v2, v2, 24
	v_add_nc_u32_e32 v3, v4, v3
	v_add_co_u32 v4, vcc_lo, v0, v2
	v_add_co_ci_u32_e32 v5, vcc_lo, v1, v3, vcc_lo
	global_store_dwordx2 v[4:5], v[14:15], off
	s_waitcnt_vscnt null, 0x0
	global_atomic_cmpswap_x2 v[2:3], v6, v[12:15], s[6:7] offset:32 glc
	s_waitcnt vmcnt(0)
	v_cmpx_ne_u64_e64 v[2:3], v[14:15]
	s_cbranch_execz .LBB1_119
; %bb.117:
	s_mov_b32 s11, 0
.LBB1_118:                              ; =>This Inner Loop Header: Depth=1
	v_mov_b32_e32 v0, s8
	v_mov_b32_e32 v1, s9
	s_sleep 1
	global_store_dwordx2 v[4:5], v[2:3], off
	s_waitcnt_vscnt null, 0x0
	global_atomic_cmpswap_x2 v[0:1], v6, v[0:3], s[6:7] offset:32 glc
	s_waitcnt vmcnt(0)
	v_cmp_eq_u64_e32 vcc_lo, v[0:1], v[2:3]
	v_mov_b32_e32 v3, v1
	v_mov_b32_e32 v2, v0
	s_or_b32 s11, vcc_lo, s11
	s_andn2_b32 exec_lo, exec_lo, s11
	s_cbranch_execnz .LBB1_118
.LBB1_119:
	s_or_b32 exec_lo, exec_lo, s10
	v_mov_b32_e32 v3, 0
	s_mov_b32 s11, exec_lo
	s_mov_b32 s10, exec_lo
	v_mbcnt_lo_u32_b32 v2, s11, 0
	global_load_dwordx2 v[0:1], v3, s[6:7] offset:16
	v_cmpx_eq_u32_e32 0, v2
	s_cbranch_execz .LBB1_121
; %bb.120:
	s_bcnt1_i32_b32 s11, s11
	v_mov_b32_e32 v2, s11
	s_waitcnt vmcnt(0)
	global_atomic_add_x2 v[0:1], v[2:3], off offset:8
.LBB1_121:
	s_or_b32 exec_lo, exec_lo, s10
	s_waitcnt vmcnt(0)
	global_load_dwordx2 v[2:3], v[0:1], off offset:16
	s_waitcnt vmcnt(0)
	v_cmp_eq_u64_e32 vcc_lo, 0, v[2:3]
	s_cbranch_vccnz .LBB1_123
; %bb.122:
	global_load_dword v0, v[0:1], off offset:24
	v_mov_b32_e32 v1, 0
	s_waitcnt vmcnt(0)
	v_and_b32_e32 v4, 0x7fffff, v0
	s_waitcnt_vscnt null, 0x0
	global_store_dwordx2 v[2:3], v[0:1], off
	v_readfirstlane_b32 m0, v4
	s_sendmsg sendmsg(MSG_INTERRUPT)
.LBB1_123:
	s_or_b32 exec_lo, exec_lo, s5
	s_branch .LBB1_127
	.p2align	6
.LBB1_124:                              ;   in Loop: Header=BB1_127 Depth=1
	s_or_b32 exec_lo, exec_lo, s5
	v_readfirstlane_b32 s5, v0
	s_cmp_eq_u32 s5, 0
	s_cbranch_scc1 .LBB1_126
; %bb.125:                              ;   in Loop: Header=BB1_127 Depth=1
	s_sleep 1
	s_cbranch_execnz .LBB1_127
	s_branch .LBB1_129
	.p2align	6
.LBB1_126:
	s_branch .LBB1_129
.LBB1_127:                              ; =>This Inner Loop Header: Depth=1
	v_mov_b32_e32 v0, 1
	s_and_saveexec_b32 s5, s4
	s_cbranch_execz .LBB1_124
; %bb.128:                              ;   in Loop: Header=BB1_127 Depth=1
	global_load_dword v0, v[8:9], off offset:20 glc dlc
	s_waitcnt vmcnt(0)
	buffer_gl1_inv
	buffer_gl0_inv
	v_and_b32_e32 v0, 1, v0
	s_branch .LBB1_124
.LBB1_129:
	global_load_dwordx2 v[0:1], v[10:11], off
	s_and_saveexec_b32 s5, s4
	s_cbranch_execz .LBB1_133
; %bb.130:
	v_mov_b32_e32 v8, 0
	s_clause 0x2
	global_load_dwordx2 v[4:5], v8, s[6:7] offset:40
	global_load_dwordx2 v[9:10], v8, s[6:7] offset:24 glc dlc
	global_load_dwordx2 v[6:7], v8, s[6:7]
	s_waitcnt vmcnt(2)
	v_add_co_u32 v11, vcc_lo, v4, 1
	v_add_co_ci_u32_e32 v12, vcc_lo, 0, v5, vcc_lo
	v_add_co_u32 v2, vcc_lo, v11, s8
	v_add_co_ci_u32_e32 v3, vcc_lo, s9, v12, vcc_lo
	v_cmp_eq_u64_e32 vcc_lo, 0, v[2:3]
	v_cndmask_b32_e32 v3, v3, v12, vcc_lo
	v_cndmask_b32_e32 v2, v2, v11, vcc_lo
	v_and_b32_e32 v5, v3, v5
	v_and_b32_e32 v4, v2, v4
	v_mul_lo_u32 v5, v5, 24
	v_mul_hi_u32 v11, v4, 24
	v_mul_lo_u32 v4, v4, 24
	v_add_nc_u32_e32 v5, v11, v5
	s_waitcnt vmcnt(0)
	v_add_co_u32 v6, vcc_lo, v6, v4
	v_mov_b32_e32 v4, v9
	v_add_co_ci_u32_e32 v7, vcc_lo, v7, v5, vcc_lo
	v_mov_b32_e32 v5, v10
	global_store_dwordx2 v[6:7], v[9:10], off
	s_waitcnt_vscnt null, 0x0
	global_atomic_cmpswap_x2 v[4:5], v8, v[2:5], s[6:7] offset:24 glc
	s_waitcnt vmcnt(0)
	v_cmp_ne_u64_e32 vcc_lo, v[4:5], v[9:10]
	s_and_b32 exec_lo, exec_lo, vcc_lo
	s_cbranch_execz .LBB1_133
; %bb.131:
	s_mov_b32 s4, 0
.LBB1_132:                              ; =>This Inner Loop Header: Depth=1
	s_sleep 1
	global_store_dwordx2 v[6:7], v[4:5], off
	s_waitcnt_vscnt null, 0x0
	global_atomic_cmpswap_x2 v[9:10], v8, v[2:5], s[6:7] offset:24 glc
	s_waitcnt vmcnt(0)
	v_cmp_eq_u64_e32 vcc_lo, v[9:10], v[4:5]
	v_mov_b32_e32 v4, v9
	v_mov_b32_e32 v5, v10
	s_or_b32 s4, vcc_lo, s4
	s_andn2_b32 exec_lo, exec_lo, s4
	s_cbranch_execnz .LBB1_132
.LBB1_133:
	s_or_b32 exec_lo, exec_lo, s5
	s_getpc_b64 s[8:9]
	s_add_u32 s8, s8, .str.10@rel32@lo+4
	s_addc_u32 s9, s9, .str.10@rel32@hi+12
	s_cmp_lg_u64 s[8:9], 0
	s_cbranch_scc0 .LBB1_240
; %bb.134:
	s_waitcnt vmcnt(0)
	v_and_b32_e32 v6, -3, v0
	v_mov_b32_e32 v7, v1
	v_mov_b32_e32 v3, 0
	;; [unrolled: 1-line block ×4, first 2 shown]
	s_mov_b64 s[10:11], 5
	s_branch .LBB1_136
.LBB1_135:                              ;   in Loop: Header=BB1_136 Depth=1
	s_or_b32 exec_lo, exec_lo, s5
	s_sub_u32 s10, s10, s12
	s_subb_u32 s11, s11, s13
	s_add_u32 s8, s8, s12
	s_addc_u32 s9, s9, s13
	s_cmp_eq_u64 s[10:11], 0
	s_cbranch_scc1 .LBB1_211
.LBB1_136:                              ; =>This Loop Header: Depth=1
                                        ;     Child Loop BB1_145 Depth 2
                                        ;     Child Loop BB1_141 Depth 2
	;; [unrolled: 1-line block ×11, first 2 shown]
	v_cmp_lt_u64_e64 s4, s[10:11], 56
	v_cmp_gt_u64_e64 s5, s[10:11], 7
                                        ; implicit-def: $sgpr19
	s_and_b32 s4, s4, exec_lo
	s_cselect_b32 s13, s11, 0
	s_cselect_b32 s12, s10, 56
	s_and_b32 vcc_lo, exec_lo, s5
	s_mov_b32 s4, -1
	s_cbranch_vccz .LBB1_143
; %bb.137:                              ;   in Loop: Header=BB1_136 Depth=1
	s_andn2_b32 vcc_lo, exec_lo, s4
	s_mov_b64 s[4:5], s[8:9]
	s_cbranch_vccz .LBB1_147
.LBB1_138:                              ;   in Loop: Header=BB1_136 Depth=1
	s_cmp_gt_u32 s19, 7
	s_cbranch_scc1 .LBB1_148
.LBB1_139:                              ;   in Loop: Header=BB1_136 Depth=1
	v_mov_b32_e32 v10, 0
	v_mov_b32_e32 v11, 0
	s_cmp_eq_u32 s19, 0
	s_cbranch_scc1 .LBB1_142
; %bb.140:                              ;   in Loop: Header=BB1_136 Depth=1
	s_mov_b64 s[14:15], 0
	s_mov_b64 s[16:17], 0
.LBB1_141:                              ;   Parent Loop BB1_136 Depth=1
                                        ; =>  This Inner Loop Header: Depth=2
	s_add_u32 s20, s4, s16
	s_addc_u32 s21, s5, s17
	s_add_u32 s16, s16, 1
	global_load_ubyte v2, v3, s[20:21]
	s_addc_u32 s17, s17, 0
	s_waitcnt vmcnt(0)
	v_and_b32_e32 v2, 0xffff, v2
	v_lshlrev_b64 v[12:13], s14, v[2:3]
	s_add_u32 s14, s14, 8
	s_addc_u32 s15, s15, 0
	s_cmp_lg_u32 s19, s16
	v_or_b32_e32 v10, v12, v10
	v_or_b32_e32 v11, v13, v11
	s_cbranch_scc1 .LBB1_141
.LBB1_142:                              ;   in Loop: Header=BB1_136 Depth=1
	s_mov_b32 s20, 0
	s_cbranch_execz .LBB1_149
	s_branch .LBB1_150
.LBB1_143:                              ;   in Loop: Header=BB1_136 Depth=1
	s_waitcnt vmcnt(0)
	v_mov_b32_e32 v8, 0
	v_mov_b32_e32 v9, 0
	s_cmp_eq_u64 s[10:11], 0
	s_mov_b64 s[4:5], 0
	s_cbranch_scc1 .LBB1_146
; %bb.144:                              ;   in Loop: Header=BB1_136 Depth=1
	v_mov_b32_e32 v8, 0
	v_mov_b32_e32 v9, 0
	s_lshl_b64 s[14:15], s[12:13], 3
	s_mov_b64 s[16:17], s[8:9]
.LBB1_145:                              ;   Parent Loop BB1_136 Depth=1
                                        ; =>  This Inner Loop Header: Depth=2
	global_load_ubyte v2, v3, s[16:17]
	s_waitcnt vmcnt(0)
	v_and_b32_e32 v2, 0xffff, v2
	v_lshlrev_b64 v[10:11], s4, v[2:3]
	s_add_u32 s4, s4, 8
	s_addc_u32 s5, s5, 0
	s_add_u32 s16, s16, 1
	s_addc_u32 s17, s17, 0
	s_cmp_lg_u32 s14, s4
	v_or_b32_e32 v8, v10, v8
	v_or_b32_e32 v9, v11, v9
	s_cbranch_scc1 .LBB1_145
.LBB1_146:                              ;   in Loop: Header=BB1_136 Depth=1
	s_mov_b32 s19, 0
	s_mov_b64 s[4:5], s[8:9]
	s_cbranch_execnz .LBB1_138
.LBB1_147:                              ;   in Loop: Header=BB1_136 Depth=1
	global_load_dwordx2 v[8:9], v3, s[8:9]
	s_add_i32 s19, s12, -8
	s_add_u32 s4, s8, 8
	s_addc_u32 s5, s9, 0
	s_cmp_gt_u32 s19, 7
	s_cbranch_scc0 .LBB1_139
.LBB1_148:                              ;   in Loop: Header=BB1_136 Depth=1
                                        ; implicit-def: $vgpr10_vgpr11
                                        ; implicit-def: $sgpr20
.LBB1_149:                              ;   in Loop: Header=BB1_136 Depth=1
	global_load_dwordx2 v[10:11], v3, s[4:5]
	s_add_i32 s20, s19, -8
	s_add_u32 s4, s4, 8
	s_addc_u32 s5, s5, 0
.LBB1_150:                              ;   in Loop: Header=BB1_136 Depth=1
	s_cmp_gt_u32 s20, 7
	s_cbranch_scc1 .LBB1_155
; %bb.151:                              ;   in Loop: Header=BB1_136 Depth=1
	v_mov_b32_e32 v12, 0
	v_mov_b32_e32 v13, 0
	s_cmp_eq_u32 s20, 0
	s_cbranch_scc1 .LBB1_154
; %bb.152:                              ;   in Loop: Header=BB1_136 Depth=1
	s_mov_b64 s[14:15], 0
	s_mov_b64 s[16:17], 0
.LBB1_153:                              ;   Parent Loop BB1_136 Depth=1
                                        ; =>  This Inner Loop Header: Depth=2
	s_add_u32 s22, s4, s16
	s_addc_u32 s23, s5, s17
	s_add_u32 s16, s16, 1
	global_load_ubyte v2, v3, s[22:23]
	s_addc_u32 s17, s17, 0
	s_waitcnt vmcnt(0)
	v_and_b32_e32 v2, 0xffff, v2
	v_lshlrev_b64 v[14:15], s14, v[2:3]
	s_add_u32 s14, s14, 8
	s_addc_u32 s15, s15, 0
	s_cmp_lg_u32 s20, s16
	v_or_b32_e32 v12, v14, v12
	v_or_b32_e32 v13, v15, v13
	s_cbranch_scc1 .LBB1_153
.LBB1_154:                              ;   in Loop: Header=BB1_136 Depth=1
	s_mov_b32 s19, 0
	s_cbranch_execz .LBB1_156
	s_branch .LBB1_157
.LBB1_155:                              ;   in Loop: Header=BB1_136 Depth=1
                                        ; implicit-def: $sgpr19
.LBB1_156:                              ;   in Loop: Header=BB1_136 Depth=1
	global_load_dwordx2 v[12:13], v3, s[4:5]
	s_add_i32 s19, s20, -8
	s_add_u32 s4, s4, 8
	s_addc_u32 s5, s5, 0
.LBB1_157:                              ;   in Loop: Header=BB1_136 Depth=1
	s_cmp_gt_u32 s19, 7
	s_cbranch_scc1 .LBB1_162
; %bb.158:                              ;   in Loop: Header=BB1_136 Depth=1
	v_mov_b32_e32 v14, 0
	v_mov_b32_e32 v15, 0
	s_cmp_eq_u32 s19, 0
	s_cbranch_scc1 .LBB1_161
; %bb.159:                              ;   in Loop: Header=BB1_136 Depth=1
	s_mov_b64 s[14:15], 0
	s_mov_b64 s[16:17], 0
.LBB1_160:                              ;   Parent Loop BB1_136 Depth=1
                                        ; =>  This Inner Loop Header: Depth=2
	s_add_u32 s20, s4, s16
	s_addc_u32 s21, s5, s17
	s_add_u32 s16, s16, 1
	global_load_ubyte v2, v3, s[20:21]
	s_addc_u32 s17, s17, 0
	s_waitcnt vmcnt(0)
	v_and_b32_e32 v2, 0xffff, v2
	v_lshlrev_b64 v[16:17], s14, v[2:3]
	s_add_u32 s14, s14, 8
	s_addc_u32 s15, s15, 0
	s_cmp_lg_u32 s19, s16
	v_or_b32_e32 v14, v16, v14
	v_or_b32_e32 v15, v17, v15
	s_cbranch_scc1 .LBB1_160
.LBB1_161:                              ;   in Loop: Header=BB1_136 Depth=1
	s_mov_b32 s20, 0
	s_cbranch_execz .LBB1_163
	s_branch .LBB1_164
.LBB1_162:                              ;   in Loop: Header=BB1_136 Depth=1
                                        ; implicit-def: $vgpr14_vgpr15
                                        ; implicit-def: $sgpr20
.LBB1_163:                              ;   in Loop: Header=BB1_136 Depth=1
	global_load_dwordx2 v[14:15], v3, s[4:5]
	s_add_i32 s20, s19, -8
	s_add_u32 s4, s4, 8
	s_addc_u32 s5, s5, 0
.LBB1_164:                              ;   in Loop: Header=BB1_136 Depth=1
	s_cmp_gt_u32 s20, 7
	s_cbranch_scc1 .LBB1_169
; %bb.165:                              ;   in Loop: Header=BB1_136 Depth=1
	v_mov_b32_e32 v16, 0
	v_mov_b32_e32 v17, 0
	s_cmp_eq_u32 s20, 0
	s_cbranch_scc1 .LBB1_168
; %bb.166:                              ;   in Loop: Header=BB1_136 Depth=1
	s_mov_b64 s[14:15], 0
	s_mov_b64 s[16:17], 0
.LBB1_167:                              ;   Parent Loop BB1_136 Depth=1
                                        ; =>  This Inner Loop Header: Depth=2
	s_add_u32 s22, s4, s16
	s_addc_u32 s23, s5, s17
	s_add_u32 s16, s16, 1
	global_load_ubyte v2, v3, s[22:23]
	s_addc_u32 s17, s17, 0
	s_waitcnt vmcnt(0)
	v_and_b32_e32 v2, 0xffff, v2
	v_lshlrev_b64 v[18:19], s14, v[2:3]
	s_add_u32 s14, s14, 8
	s_addc_u32 s15, s15, 0
	s_cmp_lg_u32 s20, s16
	v_or_b32_e32 v16, v18, v16
	v_or_b32_e32 v17, v19, v17
	s_cbranch_scc1 .LBB1_167
.LBB1_168:                              ;   in Loop: Header=BB1_136 Depth=1
	s_mov_b32 s19, 0
	s_cbranch_execz .LBB1_170
	s_branch .LBB1_171
.LBB1_169:                              ;   in Loop: Header=BB1_136 Depth=1
                                        ; implicit-def: $sgpr19
.LBB1_170:                              ;   in Loop: Header=BB1_136 Depth=1
	global_load_dwordx2 v[16:17], v3, s[4:5]
	s_add_i32 s19, s20, -8
	s_add_u32 s4, s4, 8
	s_addc_u32 s5, s5, 0
.LBB1_171:                              ;   in Loop: Header=BB1_136 Depth=1
	s_cmp_gt_u32 s19, 7
	s_cbranch_scc1 .LBB1_176
; %bb.172:                              ;   in Loop: Header=BB1_136 Depth=1
	v_mov_b32_e32 v18, 0
	v_mov_b32_e32 v19, 0
	s_cmp_eq_u32 s19, 0
	s_cbranch_scc1 .LBB1_175
; %bb.173:                              ;   in Loop: Header=BB1_136 Depth=1
	s_mov_b64 s[14:15], 0
	s_mov_b64 s[16:17], 0
.LBB1_174:                              ;   Parent Loop BB1_136 Depth=1
                                        ; =>  This Inner Loop Header: Depth=2
	s_add_u32 s20, s4, s16
	s_addc_u32 s21, s5, s17
	s_add_u32 s16, s16, 1
	global_load_ubyte v2, v3, s[20:21]
	s_addc_u32 s17, s17, 0
	s_waitcnt vmcnt(0)
	v_and_b32_e32 v2, 0xffff, v2
	v_lshlrev_b64 v[20:21], s14, v[2:3]
	s_add_u32 s14, s14, 8
	s_addc_u32 s15, s15, 0
	s_cmp_lg_u32 s19, s16
	v_or_b32_e32 v18, v20, v18
	v_or_b32_e32 v19, v21, v19
	s_cbranch_scc1 .LBB1_174
.LBB1_175:                              ;   in Loop: Header=BB1_136 Depth=1
	s_mov_b32 s20, 0
	s_cbranch_execz .LBB1_177
	s_branch .LBB1_178
.LBB1_176:                              ;   in Loop: Header=BB1_136 Depth=1
                                        ; implicit-def: $vgpr18_vgpr19
                                        ; implicit-def: $sgpr20
.LBB1_177:                              ;   in Loop: Header=BB1_136 Depth=1
	global_load_dwordx2 v[18:19], v3, s[4:5]
	s_add_i32 s20, s19, -8
	s_add_u32 s4, s4, 8
	s_addc_u32 s5, s5, 0
.LBB1_178:                              ;   in Loop: Header=BB1_136 Depth=1
	s_cmp_gt_u32 s20, 7
	s_cbranch_scc1 .LBB1_183
; %bb.179:                              ;   in Loop: Header=BB1_136 Depth=1
	v_mov_b32_e32 v20, 0
	v_mov_b32_e32 v21, 0
	s_cmp_eq_u32 s20, 0
	s_cbranch_scc1 .LBB1_182
; %bb.180:                              ;   in Loop: Header=BB1_136 Depth=1
	s_mov_b64 s[14:15], 0
	s_mov_b64 s[16:17], s[4:5]
.LBB1_181:                              ;   Parent Loop BB1_136 Depth=1
                                        ; =>  This Inner Loop Header: Depth=2
	global_load_ubyte v2, v3, s[16:17]
	s_add_i32 s20, s20, -1
	s_waitcnt vmcnt(0)
	v_and_b32_e32 v2, 0xffff, v2
	v_lshlrev_b64 v[22:23], s14, v[2:3]
	s_add_u32 s14, s14, 8
	s_addc_u32 s15, s15, 0
	s_add_u32 s16, s16, 1
	s_addc_u32 s17, s17, 0
	s_cmp_lg_u32 s20, 0
	v_or_b32_e32 v20, v22, v20
	v_or_b32_e32 v21, v23, v21
	s_cbranch_scc1 .LBB1_181
.LBB1_182:                              ;   in Loop: Header=BB1_136 Depth=1
	s_cbranch_execz .LBB1_184
	s_branch .LBB1_185
.LBB1_183:                              ;   in Loop: Header=BB1_136 Depth=1
.LBB1_184:                              ;   in Loop: Header=BB1_136 Depth=1
	global_load_dwordx2 v[20:21], v3, s[4:5]
.LBB1_185:                              ;   in Loop: Header=BB1_136 Depth=1
	v_readfirstlane_b32 s4, v28
	v_mov_b32_e32 v26, 0
	v_mov_b32_e32 v27, 0
	v_cmp_eq_u32_e64 s4, s4, v28
	s_and_saveexec_b32 s5, s4
	s_cbranch_execz .LBB1_191
; %bb.186:                              ;   in Loop: Header=BB1_136 Depth=1
	global_load_dwordx2 v[24:25], v3, s[6:7] offset:24 glc dlc
	s_waitcnt vmcnt(0)
	buffer_gl1_inv
	buffer_gl0_inv
	s_clause 0x1
	global_load_dwordx2 v[22:23], v3, s[6:7] offset:40
	global_load_dwordx2 v[26:27], v3, s[6:7]
	s_mov_b32 s14, exec_lo
	s_waitcnt vmcnt(1)
	v_and_b32_e32 v2, v23, v25
	v_and_b32_e32 v22, v22, v24
	v_mul_lo_u32 v2, v2, 24
	v_mul_hi_u32 v23, v22, 24
	v_mul_lo_u32 v22, v22, 24
	v_add_nc_u32_e32 v2, v23, v2
	s_waitcnt vmcnt(0)
	v_add_co_u32 v22, vcc_lo, v26, v22
	v_add_co_ci_u32_e32 v23, vcc_lo, v27, v2, vcc_lo
	global_load_dwordx2 v[22:23], v[22:23], off glc dlc
	s_waitcnt vmcnt(0)
	global_atomic_cmpswap_x2 v[26:27], v3, v[22:25], s[6:7] offset:24 glc
	s_waitcnt vmcnt(0)
	buffer_gl1_inv
	buffer_gl0_inv
	v_cmpx_ne_u64_e64 v[26:27], v[24:25]
	s_cbranch_execz .LBB1_190
; %bb.187:                              ;   in Loop: Header=BB1_136 Depth=1
	s_mov_b32 s15, 0
	.p2align	6
.LBB1_188:                              ;   Parent Loop BB1_136 Depth=1
                                        ; =>  This Inner Loop Header: Depth=2
	s_sleep 1
	s_clause 0x1
	global_load_dwordx2 v[22:23], v3, s[6:7] offset:40
	global_load_dwordx2 v[30:31], v3, s[6:7]
	v_mov_b32_e32 v24, v26
	v_mov_b32_e32 v25, v27
	s_waitcnt vmcnt(1)
	v_and_b32_e32 v2, v22, v24
	v_and_b32_e32 v22, v23, v25
	s_waitcnt vmcnt(0)
	v_mad_u64_u32 v[26:27], null, v2, 24, v[30:31]
	v_mov_b32_e32 v2, v27
	v_mad_u64_u32 v[22:23], null, v22, 24, v[2:3]
	v_mov_b32_e32 v27, v22
	global_load_dwordx2 v[22:23], v[26:27], off glc dlc
	s_waitcnt vmcnt(0)
	global_atomic_cmpswap_x2 v[26:27], v3, v[22:25], s[6:7] offset:24 glc
	s_waitcnt vmcnt(0)
	buffer_gl1_inv
	buffer_gl0_inv
	v_cmp_eq_u64_e32 vcc_lo, v[26:27], v[24:25]
	s_or_b32 s15, vcc_lo, s15
	s_andn2_b32 exec_lo, exec_lo, s15
	s_cbranch_execnz .LBB1_188
; %bb.189:                              ;   in Loop: Header=BB1_136 Depth=1
	s_or_b32 exec_lo, exec_lo, s15
.LBB1_190:                              ;   in Loop: Header=BB1_136 Depth=1
	s_or_b32 exec_lo, exec_lo, s14
.LBB1_191:                              ;   in Loop: Header=BB1_136 Depth=1
	s_or_b32 exec_lo, exec_lo, s5
	s_clause 0x1
	global_load_dwordx2 v[30:31], v3, s[6:7] offset:40
	global_load_dwordx4 v[22:25], v3, s[6:7]
	v_readfirstlane_b32 s14, v26
	v_readfirstlane_b32 s15, v27
	s_mov_b32 s5, exec_lo
	s_waitcnt vmcnt(1)
	v_readfirstlane_b32 s16, v30
	v_readfirstlane_b32 s17, v31
	s_and_b64 s[16:17], s[14:15], s[16:17]
	s_mul_i32 s19, s17, 24
	s_mul_hi_u32 s20, s16, 24
	s_mul_i32 s21, s16, 24
	s_add_i32 s20, s20, s19
	s_waitcnt vmcnt(0)
	v_add_co_u32 v26, vcc_lo, v22, s21
	v_add_co_ci_u32_e32 v27, vcc_lo, s20, v23, vcc_lo
	s_and_saveexec_b32 s19, s4
	s_cbranch_execz .LBB1_193
; %bb.192:                              ;   in Loop: Header=BB1_136 Depth=1
	v_mov_b32_e32 v2, s5
	global_store_dwordx4 v[26:27], v[2:5], off offset:8
.LBB1_193:                              ;   in Loop: Header=BB1_136 Depth=1
	s_or_b32 exec_lo, exec_lo, s19
	s_lshl_b64 s[16:17], s[16:17], 12
	v_or_b32_e32 v2, 2, v6
	v_add_co_u32 v24, vcc_lo, v24, s16
	v_add_co_ci_u32_e32 v25, vcc_lo, s17, v25, vcc_lo
	v_cmp_gt_u64_e64 vcc_lo, s[10:11], 56
	s_lshl_b32 s5, s12, 2
	v_readfirstlane_b32 s16, v24
	s_add_i32 s5, s5, 28
	v_readfirstlane_b32 s17, v25
	s_and_b32 s5, s5, 0x1e0
	v_cndmask_b32_e32 v2, v2, v6, vcc_lo
	v_and_or_b32 v6, 0xffffff1f, v2, s5
	global_store_dwordx4 v29, v[10:13], s[16:17] offset:16
	global_store_dwordx4 v29, v[6:9], s[16:17]
	global_store_dwordx4 v29, v[14:17], s[16:17] offset:32
	global_store_dwordx4 v29, v[18:21], s[16:17] offset:48
	s_and_saveexec_b32 s5, s4
	s_cbranch_execz .LBB1_201
; %bb.194:                              ;   in Loop: Header=BB1_136 Depth=1
	s_clause 0x1
	global_load_dwordx2 v[14:15], v3, s[6:7] offset:32 glc dlc
	global_load_dwordx2 v[6:7], v3, s[6:7] offset:40
	v_mov_b32_e32 v12, s14
	v_mov_b32_e32 v13, s15
	s_waitcnt vmcnt(0)
	v_readfirstlane_b32 s16, v6
	v_readfirstlane_b32 s17, v7
	s_and_b64 s[16:17], s[16:17], s[14:15]
	s_mul_i32 s17, s17, 24
	s_mul_hi_u32 s19, s16, 24
	s_mul_i32 s16, s16, 24
	s_add_i32 s19, s19, s17
	v_add_co_u32 v10, vcc_lo, v22, s16
	v_add_co_ci_u32_e32 v11, vcc_lo, s19, v23, vcc_lo
	s_mov_b32 s16, exec_lo
	global_store_dwordx2 v[10:11], v[14:15], off
	s_waitcnt_vscnt null, 0x0
	global_atomic_cmpswap_x2 v[8:9], v3, v[12:15], s[6:7] offset:32 glc
	s_waitcnt vmcnt(0)
	v_cmpx_ne_u64_e64 v[8:9], v[14:15]
	s_cbranch_execz .LBB1_197
; %bb.195:                              ;   in Loop: Header=BB1_136 Depth=1
	s_mov_b32 s17, 0
.LBB1_196:                              ;   Parent Loop BB1_136 Depth=1
                                        ; =>  This Inner Loop Header: Depth=2
	v_mov_b32_e32 v6, s14
	v_mov_b32_e32 v7, s15
	s_sleep 1
	global_store_dwordx2 v[10:11], v[8:9], off
	s_waitcnt_vscnt null, 0x0
	global_atomic_cmpswap_x2 v[6:7], v3, v[6:9], s[6:7] offset:32 glc
	s_waitcnt vmcnt(0)
	v_cmp_eq_u64_e32 vcc_lo, v[6:7], v[8:9]
	v_mov_b32_e32 v9, v7
	v_mov_b32_e32 v8, v6
	s_or_b32 s17, vcc_lo, s17
	s_andn2_b32 exec_lo, exec_lo, s17
	s_cbranch_execnz .LBB1_196
.LBB1_197:                              ;   in Loop: Header=BB1_136 Depth=1
	s_or_b32 exec_lo, exec_lo, s16
	global_load_dwordx2 v[6:7], v3, s[6:7] offset:16
	s_mov_b32 s17, exec_lo
	s_mov_b32 s16, exec_lo
	v_mbcnt_lo_u32_b32 v2, s17, 0
	v_cmpx_eq_u32_e32 0, v2
	s_cbranch_execz .LBB1_199
; %bb.198:                              ;   in Loop: Header=BB1_136 Depth=1
	s_bcnt1_i32_b32 s17, s17
	v_mov_b32_e32 v2, s17
	s_waitcnt vmcnt(0)
	global_atomic_add_x2 v[6:7], v[2:3], off offset:8
.LBB1_199:                              ;   in Loop: Header=BB1_136 Depth=1
	s_or_b32 exec_lo, exec_lo, s16
	s_waitcnt vmcnt(0)
	global_load_dwordx2 v[8:9], v[6:7], off offset:16
	s_waitcnt vmcnt(0)
	v_cmp_eq_u64_e32 vcc_lo, 0, v[8:9]
	s_cbranch_vccnz .LBB1_201
; %bb.200:                              ;   in Loop: Header=BB1_136 Depth=1
	global_load_dword v2, v[6:7], off offset:24
	s_waitcnt vmcnt(0)
	v_and_b32_e32 v6, 0x7fffff, v2
	s_waitcnt_vscnt null, 0x0
	global_store_dwordx2 v[8:9], v[2:3], off
	v_readfirstlane_b32 m0, v6
	s_sendmsg sendmsg(MSG_INTERRUPT)
.LBB1_201:                              ;   in Loop: Header=BB1_136 Depth=1
	s_or_b32 exec_lo, exec_lo, s5
	v_add_co_u32 v6, vcc_lo, v24, v29
	v_add_co_ci_u32_e32 v7, vcc_lo, 0, v25, vcc_lo
	s_branch .LBB1_205
	.p2align	6
.LBB1_202:                              ;   in Loop: Header=BB1_205 Depth=2
	s_or_b32 exec_lo, exec_lo, s5
	v_readfirstlane_b32 s5, v2
	s_cmp_eq_u32 s5, 0
	s_cbranch_scc1 .LBB1_204
; %bb.203:                              ;   in Loop: Header=BB1_205 Depth=2
	s_sleep 1
	s_cbranch_execnz .LBB1_205
	s_branch .LBB1_207
	.p2align	6
.LBB1_204:                              ;   in Loop: Header=BB1_136 Depth=1
	s_branch .LBB1_207
.LBB1_205:                              ;   Parent Loop BB1_136 Depth=1
                                        ; =>  This Inner Loop Header: Depth=2
	v_mov_b32_e32 v2, 1
	s_and_saveexec_b32 s5, s4
	s_cbranch_execz .LBB1_202
; %bb.206:                              ;   in Loop: Header=BB1_205 Depth=2
	global_load_dword v2, v[26:27], off offset:20 glc dlc
	s_waitcnt vmcnt(0)
	buffer_gl1_inv
	buffer_gl0_inv
	v_and_b32_e32 v2, 1, v2
	s_branch .LBB1_202
.LBB1_207:                              ;   in Loop: Header=BB1_136 Depth=1
	global_load_dwordx4 v[6:9], v[6:7], off
	s_and_saveexec_b32 s5, s4
	s_cbranch_execz .LBB1_135
; %bb.208:                              ;   in Loop: Header=BB1_136 Depth=1
	s_clause 0x2
	global_load_dwordx2 v[10:11], v3, s[6:7] offset:40
	global_load_dwordx2 v[14:15], v3, s[6:7] offset:24 glc dlc
	global_load_dwordx2 v[12:13], v3, s[6:7]
	s_waitcnt vmcnt(2)
	v_add_co_u32 v2, vcc_lo, v10, 1
	v_add_co_ci_u32_e32 v16, vcc_lo, 0, v11, vcc_lo
	v_add_co_u32 v8, vcc_lo, v2, s14
	v_add_co_ci_u32_e32 v9, vcc_lo, s15, v16, vcc_lo
	v_cmp_eq_u64_e32 vcc_lo, 0, v[8:9]
	v_cndmask_b32_e32 v9, v9, v16, vcc_lo
	v_cndmask_b32_e32 v8, v8, v2, vcc_lo
	v_and_b32_e32 v2, v9, v11
	v_and_b32_e32 v10, v8, v10
	v_mul_lo_u32 v2, v2, 24
	v_mul_hi_u32 v11, v10, 24
	v_mul_lo_u32 v10, v10, 24
	v_add_nc_u32_e32 v2, v11, v2
	s_waitcnt vmcnt(0)
	v_add_co_u32 v12, vcc_lo, v12, v10
	v_mov_b32_e32 v10, v14
	v_mov_b32_e32 v11, v15
	v_add_co_ci_u32_e32 v13, vcc_lo, v13, v2, vcc_lo
	global_store_dwordx2 v[12:13], v[14:15], off
	s_waitcnt_vscnt null, 0x0
	global_atomic_cmpswap_x2 v[10:11], v3, v[8:11], s[6:7] offset:24 glc
	s_waitcnt vmcnt(0)
	v_cmp_ne_u64_e32 vcc_lo, v[10:11], v[14:15]
	s_and_b32 exec_lo, exec_lo, vcc_lo
	s_cbranch_execz .LBB1_135
; %bb.209:                              ;   in Loop: Header=BB1_136 Depth=1
	s_mov_b32 s4, 0
.LBB1_210:                              ;   Parent Loop BB1_136 Depth=1
                                        ; =>  This Inner Loop Header: Depth=2
	s_sleep 1
	global_store_dwordx2 v[12:13], v[10:11], off
	s_waitcnt_vscnt null, 0x0
	global_atomic_cmpswap_x2 v[14:15], v3, v[8:11], s[6:7] offset:24 glc
	s_waitcnt vmcnt(0)
	v_cmp_eq_u64_e32 vcc_lo, v[14:15], v[10:11]
	v_mov_b32_e32 v10, v14
	v_mov_b32_e32 v11, v15
	s_or_b32 s4, vcc_lo, s4
	s_andn2_b32 exec_lo, exec_lo, s4
	s_cbranch_execnz .LBB1_210
	s_branch .LBB1_135
.LBB1_211:
	s_branch .LBB1_263
.LBB1_212:
	s_cbranch_execz .LBB1_106
; %bb.213:
	v_readfirstlane_b32 s4, v28
	s_waitcnt vmcnt(0)
	v_mov_b32_e32 v8, 0
	v_mov_b32_e32 v9, 0
	v_cmp_eq_u32_e64 s4, s4, v28
	s_and_saveexec_b32 s5, s4
	s_cbranch_execz .LBB1_219
; %bb.214:
	v_mov_b32_e32 v2, 0
	s_mov_b32 s8, exec_lo
	global_load_dwordx2 v[5:6], v2, s[6:7] offset:24 glc dlc
	s_waitcnt vmcnt(0)
	buffer_gl1_inv
	buffer_gl0_inv
	s_clause 0x1
	global_load_dwordx2 v[3:4], v2, s[6:7] offset:40
	global_load_dwordx2 v[7:8], v2, s[6:7]
	s_waitcnt vmcnt(1)
	v_and_b32_e32 v4, v4, v6
	v_and_b32_e32 v3, v3, v5
	v_mul_lo_u32 v4, v4, 24
	v_mul_hi_u32 v9, v3, 24
	v_mul_lo_u32 v3, v3, 24
	v_add_nc_u32_e32 v4, v9, v4
	s_waitcnt vmcnt(0)
	v_add_co_u32 v3, vcc_lo, v7, v3
	v_add_co_ci_u32_e32 v4, vcc_lo, v8, v4, vcc_lo
	global_load_dwordx2 v[3:4], v[3:4], off glc dlc
	s_waitcnt vmcnt(0)
	global_atomic_cmpswap_x2 v[8:9], v2, v[3:6], s[6:7] offset:24 glc
	s_waitcnt vmcnt(0)
	buffer_gl1_inv
	buffer_gl0_inv
	v_cmpx_ne_u64_e64 v[8:9], v[5:6]
	s_cbranch_execz .LBB1_218
; %bb.215:
	s_mov_b32 s9, 0
	.p2align	6
.LBB1_216:                              ; =>This Inner Loop Header: Depth=1
	s_sleep 1
	s_clause 0x1
	global_load_dwordx2 v[3:4], v2, s[6:7] offset:40
	global_load_dwordx2 v[10:11], v2, s[6:7]
	v_mov_b32_e32 v5, v8
	v_mov_b32_e32 v6, v9
	s_waitcnt vmcnt(1)
	v_and_b32_e32 v3, v3, v5
	v_and_b32_e32 v4, v4, v6
	s_waitcnt vmcnt(0)
	v_mad_u64_u32 v[7:8], null, v3, 24, v[10:11]
	v_mov_b32_e32 v3, v8
	v_mad_u64_u32 v[3:4], null, v4, 24, v[3:4]
	v_mov_b32_e32 v8, v3
	global_load_dwordx2 v[3:4], v[7:8], off glc dlc
	s_waitcnt vmcnt(0)
	global_atomic_cmpswap_x2 v[8:9], v2, v[3:6], s[6:7] offset:24 glc
	s_waitcnt vmcnt(0)
	buffer_gl1_inv
	buffer_gl0_inv
	v_cmp_eq_u64_e32 vcc_lo, v[8:9], v[5:6]
	s_or_b32 s9, vcc_lo, s9
	s_andn2_b32 exec_lo, exec_lo, s9
	s_cbranch_execnz .LBB1_216
; %bb.217:
	s_or_b32 exec_lo, exec_lo, s9
.LBB1_218:
	s_or_b32 exec_lo, exec_lo, s8
.LBB1_219:
	s_or_b32 exec_lo, exec_lo, s5
	v_mov_b32_e32 v2, 0
	v_readfirstlane_b32 s8, v8
	v_readfirstlane_b32 s9, v9
	s_mov_b32 s5, exec_lo
	s_clause 0x1
	global_load_dwordx2 v[10:11], v2, s[6:7] offset:40
	global_load_dwordx4 v[4:7], v2, s[6:7]
	s_waitcnt vmcnt(1)
	v_readfirstlane_b32 s10, v10
	v_readfirstlane_b32 s11, v11
	s_and_b64 s[10:11], s[8:9], s[10:11]
	s_mul_i32 s12, s11, 24
	s_mul_hi_u32 s13, s10, 24
	s_mul_i32 s14, s10, 24
	s_add_i32 s13, s13, s12
	s_waitcnt vmcnt(0)
	v_add_co_u32 v8, vcc_lo, v4, s14
	v_add_co_ci_u32_e32 v9, vcc_lo, s13, v5, vcc_lo
	s_and_saveexec_b32 s12, s4
	s_cbranch_execz .LBB1_221
; %bb.220:
	v_mov_b32_e32 v10, s5
	v_mov_b32_e32 v11, v2
	;; [unrolled: 1-line block ×4, first 2 shown]
	global_store_dwordx4 v[8:9], v[10:13], off offset:8
.LBB1_221:
	s_or_b32 exec_lo, exec_lo, s12
	s_lshl_b64 s[10:11], s[10:11], 12
	s_mov_b32 s12, 0
	v_add_co_u32 v6, vcc_lo, v6, s10
	v_add_co_ci_u32_e32 v7, vcc_lo, s11, v7, vcc_lo
	s_mov_b32 s13, s12
	s_mov_b32 s14, s12
	;; [unrolled: 1-line block ×3, first 2 shown]
	v_and_or_b32 v0, 0xffffff1d, v0, 34
	v_mov_b32_e32 v3, v2
	v_readfirstlane_b32 s10, v6
	v_readfirstlane_b32 s11, v7
	v_mov_b32_e32 v10, s12
	v_mov_b32_e32 v11, s13
	;; [unrolled: 1-line block ×4, first 2 shown]
	global_store_dwordx4 v29, v[0:3], s[10:11]
	global_store_dwordx4 v29, v[10:13], s[10:11] offset:16
	global_store_dwordx4 v29, v[10:13], s[10:11] offset:32
	;; [unrolled: 1-line block ×3, first 2 shown]
	s_and_saveexec_b32 s5, s4
	s_cbranch_execz .LBB1_229
; %bb.222:
	v_mov_b32_e32 v6, 0
	v_mov_b32_e32 v10, s8
	;; [unrolled: 1-line block ×3, first 2 shown]
	s_clause 0x1
	global_load_dwordx2 v[12:13], v6, s[6:7] offset:32 glc dlc
	global_load_dwordx2 v[0:1], v6, s[6:7] offset:40
	s_waitcnt vmcnt(0)
	v_readfirstlane_b32 s10, v0
	v_readfirstlane_b32 s11, v1
	s_and_b64 s[10:11], s[10:11], s[8:9]
	s_mul_i32 s11, s11, 24
	s_mul_hi_u32 s12, s10, 24
	s_mul_i32 s10, s10, 24
	s_add_i32 s12, s12, s11
	v_add_co_u32 v4, vcc_lo, v4, s10
	v_add_co_ci_u32_e32 v5, vcc_lo, s12, v5, vcc_lo
	s_mov_b32 s10, exec_lo
	global_store_dwordx2 v[4:5], v[12:13], off
	s_waitcnt_vscnt null, 0x0
	global_atomic_cmpswap_x2 v[2:3], v6, v[10:13], s[6:7] offset:32 glc
	s_waitcnt vmcnt(0)
	v_cmpx_ne_u64_e64 v[2:3], v[12:13]
	s_cbranch_execz .LBB1_225
; %bb.223:
	s_mov_b32 s11, 0
.LBB1_224:                              ; =>This Inner Loop Header: Depth=1
	v_mov_b32_e32 v0, s8
	v_mov_b32_e32 v1, s9
	s_sleep 1
	global_store_dwordx2 v[4:5], v[2:3], off
	s_waitcnt_vscnt null, 0x0
	global_atomic_cmpswap_x2 v[0:1], v6, v[0:3], s[6:7] offset:32 glc
	s_waitcnt vmcnt(0)
	v_cmp_eq_u64_e32 vcc_lo, v[0:1], v[2:3]
	v_mov_b32_e32 v3, v1
	v_mov_b32_e32 v2, v0
	s_or_b32 s11, vcc_lo, s11
	s_andn2_b32 exec_lo, exec_lo, s11
	s_cbranch_execnz .LBB1_224
.LBB1_225:
	s_or_b32 exec_lo, exec_lo, s10
	v_mov_b32_e32 v3, 0
	s_mov_b32 s11, exec_lo
	s_mov_b32 s10, exec_lo
	v_mbcnt_lo_u32_b32 v2, s11, 0
	global_load_dwordx2 v[0:1], v3, s[6:7] offset:16
	v_cmpx_eq_u32_e32 0, v2
	s_cbranch_execz .LBB1_227
; %bb.226:
	s_bcnt1_i32_b32 s11, s11
	v_mov_b32_e32 v2, s11
	s_waitcnt vmcnt(0)
	global_atomic_add_x2 v[0:1], v[2:3], off offset:8
.LBB1_227:
	s_or_b32 exec_lo, exec_lo, s10
	s_waitcnt vmcnt(0)
	global_load_dwordx2 v[2:3], v[0:1], off offset:16
	s_waitcnt vmcnt(0)
	v_cmp_eq_u64_e32 vcc_lo, 0, v[2:3]
	s_cbranch_vccnz .LBB1_229
; %bb.228:
	global_load_dword v0, v[0:1], off offset:24
	v_mov_b32_e32 v1, 0
	s_waitcnt vmcnt(0)
	v_and_b32_e32 v4, 0x7fffff, v0
	s_waitcnt_vscnt null, 0x0
	global_store_dwordx2 v[2:3], v[0:1], off
	v_readfirstlane_b32 m0, v4
	s_sendmsg sendmsg(MSG_INTERRUPT)
.LBB1_229:
	s_or_b32 exec_lo, exec_lo, s5
	s_branch .LBB1_233
	.p2align	6
.LBB1_230:                              ;   in Loop: Header=BB1_233 Depth=1
	s_or_b32 exec_lo, exec_lo, s5
	v_readfirstlane_b32 s5, v0
	s_cmp_eq_u32 s5, 0
	s_cbranch_scc1 .LBB1_232
; %bb.231:                              ;   in Loop: Header=BB1_233 Depth=1
	s_sleep 1
	s_cbranch_execnz .LBB1_233
	s_branch .LBB1_235
	.p2align	6
.LBB1_232:
	s_branch .LBB1_235
.LBB1_233:                              ; =>This Inner Loop Header: Depth=1
	v_mov_b32_e32 v0, 1
	s_and_saveexec_b32 s5, s4
	s_cbranch_execz .LBB1_230
; %bb.234:                              ;   in Loop: Header=BB1_233 Depth=1
	global_load_dword v0, v[8:9], off offset:20 glc dlc
	s_waitcnt vmcnt(0)
	buffer_gl1_inv
	buffer_gl0_inv
	v_and_b32_e32 v0, 1, v0
	s_branch .LBB1_230
.LBB1_235:
	s_and_saveexec_b32 s5, s4
	s_cbranch_execz .LBB1_239
; %bb.236:
	v_mov_b32_e32 v6, 0
	s_clause 0x2
	global_load_dwordx2 v[2:3], v6, s[6:7] offset:40
	global_load_dwordx2 v[7:8], v6, s[6:7] offset:24 glc dlc
	global_load_dwordx2 v[4:5], v6, s[6:7]
	s_waitcnt vmcnt(2)
	v_add_co_u32 v9, vcc_lo, v2, 1
	v_add_co_ci_u32_e32 v10, vcc_lo, 0, v3, vcc_lo
	v_add_co_u32 v0, vcc_lo, v9, s8
	v_add_co_ci_u32_e32 v1, vcc_lo, s9, v10, vcc_lo
	v_cmp_eq_u64_e32 vcc_lo, 0, v[0:1]
	v_cndmask_b32_e32 v1, v1, v10, vcc_lo
	v_cndmask_b32_e32 v0, v0, v9, vcc_lo
	v_and_b32_e32 v3, v1, v3
	v_and_b32_e32 v2, v0, v2
	v_mul_lo_u32 v3, v3, 24
	v_mul_hi_u32 v9, v2, 24
	v_mul_lo_u32 v2, v2, 24
	v_add_nc_u32_e32 v3, v9, v3
	s_waitcnt vmcnt(0)
	v_add_co_u32 v4, vcc_lo, v4, v2
	v_mov_b32_e32 v2, v7
	v_add_co_ci_u32_e32 v5, vcc_lo, v5, v3, vcc_lo
	v_mov_b32_e32 v3, v8
	global_store_dwordx2 v[4:5], v[7:8], off
	s_waitcnt_vscnt null, 0x0
	global_atomic_cmpswap_x2 v[2:3], v6, v[0:3], s[6:7] offset:24 glc
	s_waitcnt vmcnt(0)
	v_cmp_ne_u64_e32 vcc_lo, v[2:3], v[7:8]
	s_and_b32 exec_lo, exec_lo, vcc_lo
	s_cbranch_execz .LBB1_239
; %bb.237:
	s_mov_b32 s4, 0
.LBB1_238:                              ; =>This Inner Loop Header: Depth=1
	s_sleep 1
	global_store_dwordx2 v[4:5], v[2:3], off
	s_waitcnt_vscnt null, 0x0
	global_atomic_cmpswap_x2 v[7:8], v6, v[0:3], s[6:7] offset:24 glc
	s_waitcnt vmcnt(0)
	v_cmp_eq_u64_e32 vcc_lo, v[7:8], v[2:3]
	v_mov_b32_e32 v2, v7
	v_mov_b32_e32 v3, v8
	s_or_b32 s4, vcc_lo, s4
	s_andn2_b32 exec_lo, exec_lo, s4
	s_cbranch_execnz .LBB1_238
.LBB1_239:
	s_or_b32 exec_lo, exec_lo, s5
                                        ; implicit-def: $vgpr28
	s_andn2_saveexec_b32 s18, s18
	s_cbranch_execnz .LBB1_107
	s_branch .LBB1_263
.LBB1_240:
	s_cbranch_execz .LBB1_263
; %bb.241:
	v_readfirstlane_b32 s4, v28
	s_waitcnt vmcnt(0)
	v_mov_b32_e32 v8, 0
	v_mov_b32_e32 v9, 0
	v_cmp_eq_u32_e64 s4, s4, v28
	s_and_saveexec_b32 s5, s4
	s_cbranch_execz .LBB1_247
; %bb.242:
	v_mov_b32_e32 v2, 0
	s_mov_b32 s8, exec_lo
	global_load_dwordx2 v[5:6], v2, s[6:7] offset:24 glc dlc
	s_waitcnt vmcnt(0)
	buffer_gl1_inv
	buffer_gl0_inv
	s_clause 0x1
	global_load_dwordx2 v[3:4], v2, s[6:7] offset:40
	global_load_dwordx2 v[7:8], v2, s[6:7]
	s_waitcnt vmcnt(1)
	v_and_b32_e32 v4, v4, v6
	v_and_b32_e32 v3, v3, v5
	v_mul_lo_u32 v4, v4, 24
	v_mul_hi_u32 v9, v3, 24
	v_mul_lo_u32 v3, v3, 24
	v_add_nc_u32_e32 v4, v9, v4
	s_waitcnt vmcnt(0)
	v_add_co_u32 v3, vcc_lo, v7, v3
	v_add_co_ci_u32_e32 v4, vcc_lo, v8, v4, vcc_lo
	global_load_dwordx2 v[3:4], v[3:4], off glc dlc
	s_waitcnt vmcnt(0)
	global_atomic_cmpswap_x2 v[8:9], v2, v[3:6], s[6:7] offset:24 glc
	s_waitcnt vmcnt(0)
	buffer_gl1_inv
	buffer_gl0_inv
	v_cmpx_ne_u64_e64 v[8:9], v[5:6]
	s_cbranch_execz .LBB1_246
; %bb.243:
	s_mov_b32 s9, 0
	.p2align	6
.LBB1_244:                              ; =>This Inner Loop Header: Depth=1
	s_sleep 1
	s_clause 0x1
	global_load_dwordx2 v[3:4], v2, s[6:7] offset:40
	global_load_dwordx2 v[10:11], v2, s[6:7]
	v_mov_b32_e32 v5, v8
	v_mov_b32_e32 v6, v9
	s_waitcnt vmcnt(1)
	v_and_b32_e32 v3, v3, v5
	v_and_b32_e32 v4, v4, v6
	s_waitcnt vmcnt(0)
	v_mad_u64_u32 v[7:8], null, v3, 24, v[10:11]
	v_mov_b32_e32 v3, v8
	v_mad_u64_u32 v[3:4], null, v4, 24, v[3:4]
	v_mov_b32_e32 v8, v3
	global_load_dwordx2 v[3:4], v[7:8], off glc dlc
	s_waitcnt vmcnt(0)
	global_atomic_cmpswap_x2 v[8:9], v2, v[3:6], s[6:7] offset:24 glc
	s_waitcnt vmcnt(0)
	buffer_gl1_inv
	buffer_gl0_inv
	v_cmp_eq_u64_e32 vcc_lo, v[8:9], v[5:6]
	s_or_b32 s9, vcc_lo, s9
	s_andn2_b32 exec_lo, exec_lo, s9
	s_cbranch_execnz .LBB1_244
; %bb.245:
	s_or_b32 exec_lo, exec_lo, s9
.LBB1_246:
	s_or_b32 exec_lo, exec_lo, s8
.LBB1_247:
	s_or_b32 exec_lo, exec_lo, s5
	v_mov_b32_e32 v2, 0
	v_readfirstlane_b32 s8, v8
	v_readfirstlane_b32 s9, v9
	s_mov_b32 s5, exec_lo
	s_clause 0x1
	global_load_dwordx2 v[10:11], v2, s[6:7] offset:40
	global_load_dwordx4 v[4:7], v2, s[6:7]
	s_waitcnt vmcnt(1)
	v_readfirstlane_b32 s10, v10
	v_readfirstlane_b32 s11, v11
	s_and_b64 s[10:11], s[8:9], s[10:11]
	s_mul_i32 s12, s11, 24
	s_mul_hi_u32 s13, s10, 24
	s_mul_i32 s14, s10, 24
	s_add_i32 s13, s13, s12
	s_waitcnt vmcnt(0)
	v_add_co_u32 v8, vcc_lo, v4, s14
	v_add_co_ci_u32_e32 v9, vcc_lo, s13, v5, vcc_lo
	s_and_saveexec_b32 s12, s4
	s_cbranch_execz .LBB1_249
; %bb.248:
	v_mov_b32_e32 v10, s5
	v_mov_b32_e32 v11, v2
	;; [unrolled: 1-line block ×4, first 2 shown]
	global_store_dwordx4 v[8:9], v[10:13], off offset:8
.LBB1_249:
	s_or_b32 exec_lo, exec_lo, s12
	s_lshl_b64 s[10:11], s[10:11], 12
	s_mov_b32 s12, 0
	v_add_co_u32 v6, vcc_lo, v6, s10
	v_add_co_ci_u32_e32 v7, vcc_lo, s11, v7, vcc_lo
	s_mov_b32 s13, s12
	s_mov_b32 s14, s12
	;; [unrolled: 1-line block ×3, first 2 shown]
	v_and_or_b32 v0, 0xffffff1d, v0, 34
	v_mov_b32_e32 v3, v2
	v_readfirstlane_b32 s10, v6
	v_readfirstlane_b32 s11, v7
	v_mov_b32_e32 v10, s12
	v_mov_b32_e32 v11, s13
	v_mov_b32_e32 v12, s14
	v_mov_b32_e32 v13, s15
	global_store_dwordx4 v29, v[0:3], s[10:11]
	global_store_dwordx4 v29, v[10:13], s[10:11] offset:16
	global_store_dwordx4 v29, v[10:13], s[10:11] offset:32
	;; [unrolled: 1-line block ×3, first 2 shown]
	s_and_saveexec_b32 s5, s4
	s_cbranch_execz .LBB1_257
; %bb.250:
	v_mov_b32_e32 v6, 0
	v_mov_b32_e32 v10, s8
	;; [unrolled: 1-line block ×3, first 2 shown]
	s_clause 0x1
	global_load_dwordx2 v[12:13], v6, s[6:7] offset:32 glc dlc
	global_load_dwordx2 v[0:1], v6, s[6:7] offset:40
	s_waitcnt vmcnt(0)
	v_readfirstlane_b32 s10, v0
	v_readfirstlane_b32 s11, v1
	s_and_b64 s[10:11], s[10:11], s[8:9]
	s_mul_i32 s11, s11, 24
	s_mul_hi_u32 s12, s10, 24
	s_mul_i32 s10, s10, 24
	s_add_i32 s12, s12, s11
	v_add_co_u32 v4, vcc_lo, v4, s10
	v_add_co_ci_u32_e32 v5, vcc_lo, s12, v5, vcc_lo
	s_mov_b32 s10, exec_lo
	global_store_dwordx2 v[4:5], v[12:13], off
	s_waitcnt_vscnt null, 0x0
	global_atomic_cmpswap_x2 v[2:3], v6, v[10:13], s[6:7] offset:32 glc
	s_waitcnt vmcnt(0)
	v_cmpx_ne_u64_e64 v[2:3], v[12:13]
	s_cbranch_execz .LBB1_253
; %bb.251:
	s_mov_b32 s11, 0
.LBB1_252:                              ; =>This Inner Loop Header: Depth=1
	v_mov_b32_e32 v0, s8
	v_mov_b32_e32 v1, s9
	s_sleep 1
	global_store_dwordx2 v[4:5], v[2:3], off
	s_waitcnt_vscnt null, 0x0
	global_atomic_cmpswap_x2 v[0:1], v6, v[0:3], s[6:7] offset:32 glc
	s_waitcnt vmcnt(0)
	v_cmp_eq_u64_e32 vcc_lo, v[0:1], v[2:3]
	v_mov_b32_e32 v3, v1
	v_mov_b32_e32 v2, v0
	s_or_b32 s11, vcc_lo, s11
	s_andn2_b32 exec_lo, exec_lo, s11
	s_cbranch_execnz .LBB1_252
.LBB1_253:
	s_or_b32 exec_lo, exec_lo, s10
	v_mov_b32_e32 v3, 0
	s_mov_b32 s11, exec_lo
	s_mov_b32 s10, exec_lo
	v_mbcnt_lo_u32_b32 v2, s11, 0
	global_load_dwordx2 v[0:1], v3, s[6:7] offset:16
	v_cmpx_eq_u32_e32 0, v2
	s_cbranch_execz .LBB1_255
; %bb.254:
	s_bcnt1_i32_b32 s11, s11
	v_mov_b32_e32 v2, s11
	s_waitcnt vmcnt(0)
	global_atomic_add_x2 v[0:1], v[2:3], off offset:8
.LBB1_255:
	s_or_b32 exec_lo, exec_lo, s10
	s_waitcnt vmcnt(0)
	global_load_dwordx2 v[2:3], v[0:1], off offset:16
	s_waitcnt vmcnt(0)
	v_cmp_eq_u64_e32 vcc_lo, 0, v[2:3]
	s_cbranch_vccnz .LBB1_257
; %bb.256:
	global_load_dword v0, v[0:1], off offset:24
	v_mov_b32_e32 v1, 0
	s_waitcnt vmcnt(0)
	v_and_b32_e32 v4, 0x7fffff, v0
	s_waitcnt_vscnt null, 0x0
	global_store_dwordx2 v[2:3], v[0:1], off
	v_readfirstlane_b32 m0, v4
	s_sendmsg sendmsg(MSG_INTERRUPT)
.LBB1_257:
	s_or_b32 exec_lo, exec_lo, s5
	s_branch .LBB1_261
	.p2align	6
.LBB1_258:                              ;   in Loop: Header=BB1_261 Depth=1
	s_or_b32 exec_lo, exec_lo, s5
	v_readfirstlane_b32 s5, v0
	s_cmp_eq_u32 s5, 0
	s_cbranch_scc1 .LBB1_260
; %bb.259:                              ;   in Loop: Header=BB1_261 Depth=1
	s_sleep 1
	s_cbranch_execnz .LBB1_261
	s_branch .LBB1_264
	.p2align	6
.LBB1_260:
	s_branch .LBB1_264
.LBB1_261:                              ; =>This Inner Loop Header: Depth=1
	v_mov_b32_e32 v0, 1
	s_and_saveexec_b32 s5, s4
	s_cbranch_execz .LBB1_258
; %bb.262:                              ;   in Loop: Header=BB1_261 Depth=1
	global_load_dword v0, v[8:9], off offset:20 glc dlc
	s_waitcnt vmcnt(0)
	buffer_gl1_inv
	buffer_gl0_inv
	v_and_b32_e32 v0, 1, v0
	s_branch .LBB1_258
.LBB1_263:
	s_or_b32 exec_lo, exec_lo, s18
	s_waitcnt vmcnt(0) lgkmcnt(0)
	s_setpc_b64 s[30:31]
.LBB1_264:
	s_and_saveexec_b32 s5, s4
	s_cbranch_execz .LBB1_268
; %bb.265:
	v_mov_b32_e32 v6, 0
	s_clause 0x2
	global_load_dwordx2 v[2:3], v6, s[6:7] offset:40
	global_load_dwordx2 v[7:8], v6, s[6:7] offset:24 glc dlc
	global_load_dwordx2 v[4:5], v6, s[6:7]
	s_waitcnt vmcnt(2)
	v_add_co_u32 v9, vcc_lo, v2, 1
	v_add_co_ci_u32_e32 v10, vcc_lo, 0, v3, vcc_lo
	v_add_co_u32 v0, vcc_lo, v9, s8
	v_add_co_ci_u32_e32 v1, vcc_lo, s9, v10, vcc_lo
	v_cmp_eq_u64_e32 vcc_lo, 0, v[0:1]
	v_cndmask_b32_e32 v1, v1, v10, vcc_lo
	v_cndmask_b32_e32 v0, v0, v9, vcc_lo
	v_and_b32_e32 v3, v1, v3
	v_and_b32_e32 v2, v0, v2
	v_mul_lo_u32 v3, v3, 24
	v_mul_hi_u32 v9, v2, 24
	v_mul_lo_u32 v2, v2, 24
	v_add_nc_u32_e32 v3, v9, v3
	s_waitcnt vmcnt(0)
	v_add_co_u32 v4, vcc_lo, v4, v2
	v_mov_b32_e32 v2, v7
	v_add_co_ci_u32_e32 v5, vcc_lo, v5, v3, vcc_lo
	v_mov_b32_e32 v3, v8
	global_store_dwordx2 v[4:5], v[7:8], off
	s_waitcnt_vscnt null, 0x0
	global_atomic_cmpswap_x2 v[2:3], v6, v[0:3], s[6:7] offset:24 glc
	s_waitcnt vmcnt(0)
	v_cmp_ne_u64_e32 vcc_lo, v[2:3], v[7:8]
	s_and_b32 exec_lo, exec_lo, vcc_lo
	s_cbranch_execz .LBB1_268
; %bb.266:
	s_mov_b32 s4, 0
.LBB1_267:                              ; =>This Inner Loop Header: Depth=1
	s_sleep 1
	global_store_dwordx2 v[4:5], v[2:3], off
	s_waitcnt_vscnt null, 0x0
	global_atomic_cmpswap_x2 v[7:8], v6, v[0:3], s[6:7] offset:24 glc
	s_waitcnt vmcnt(0)
	v_cmp_eq_u64_e32 vcc_lo, v[7:8], v[2:3]
	v_mov_b32_e32 v2, v7
	v_mov_b32_e32 v3, v8
	s_or_b32 s4, vcc_lo, s4
	s_andn2_b32 exec_lo, exec_lo, s4
	s_cbranch_execnz .LBB1_267
.LBB1_268:
	s_or_b32 exec_lo, exec_lo, s5
	s_or_b32 exec_lo, exec_lo, s18
	s_waitcnt lgkmcnt(0)
	s_setpc_b64 s[30:31]
.Lfunc_end1:
	.size	_ZN8migraphx4testlsIKNS_13basic_printerIZNS_4coutEvEUlT_E_EEEERS3_S7_RKNS0_14lhs_expressionIbNS0_3nopEEE, .Lfunc_end1-_ZN8migraphx4testlsIKNS_13basic_printerIZNS_4coutEvEUlT_E_EEEERS3_S7_RKNS0_14lhs_expressionIbNS0_3nopEEE
                                        ; -- End function
	.section	.AMDGPU.csdata,"",@progbits
; Function info:
; codeLenInByte = 9464
; NumSgprs: 34
; NumVgprs: 32
; ScratchSize: 0
; MemoryBound: 0
	.text
	.p2align	2                               ; -- Begin function _ZN8migraphx4test4failEv
	.type	_ZN8migraphx4test4failEv,@function
_ZN8migraphx4test4failEv:               ; @_ZN8migraphx4test4failEv
; %bb.0:
	s_waitcnt vmcnt(0) expcnt(0) lgkmcnt(0)
	v_mov_b32_e32 v0, 0
	s_clause 0x1
	global_load_dword v1, v0, s[8:9] offset:18
	global_load_ushort v2, v0, s[8:9] offset:22
	s_clause 0x1
	s_load_dwordx2 s[4:5], s[8:9], 0x0
	s_load_dword s6, s[8:9], 0x8
	s_waitcnt vmcnt(1)
	v_cmp_ne_u16_e32 vcc_lo, 0, v1
	v_cmp_ne_u16_sdwa s7, v1, v0 src0_sel:WORD_1 src1_sel:DWORD
	s_cmp_lg_u32 vcc_lo, 0
	s_waitcnt vmcnt(0)
	v_cmp_ne_u16_e32 vcc_lo, 0, v2
	s_waitcnt lgkmcnt(0)
	s_addc_u32 s10, s4, 0
	s_cmp_lg_u32 s7, 0
	s_addc_u32 s7, s5, 0
	s_cmp_lg_u32 vcc_lo, 0
	s_mul_i32 s7, s7, s10
	s_addc_u32 s10, s6, 0
	s_mul_i32 s7, s7, s10
	s_cmp_lg_u32 s7, 1
	s_cbranch_scc1 .LBB2_3
; %bb.1:
	s_cmp_lt_u32 s14, s6
	s_cselect_b32 s6, 16, 22
	s_add_u32 s6, s8, s6
	s_addc_u32 s7, s9, 0
	s_cmp_lt_u32 s13, s5
	s_cselect_b32 s5, 14, 20
	s_add_u32 s10, s8, s5
	s_addc_u32 s11, s9, 0
	s_clause 0x1
	global_load_ushort v1, v0, s[6:7]
	global_load_ushort v2, v0, s[10:11]
	s_cmp_lt_u32 s12, s4
	s_cselect_b32 s4, 12, 18
	s_add_u32 s4, s8, s4
	s_addc_u32 s5, s9, 0
	global_load_ushort v0, v0, s[4:5]
	s_waitcnt vmcnt(1)
	v_mul_lo_u32 v1, v2, v1
	s_waitcnt vmcnt(0)
	v_mul_lo_u32 v0, v1, v0
	v_cmp_lt_u32_e32 vcc_lo, 32, v0
	s_cbranch_vccnz .LBB2_3
; %bb.2:
	s_endpgm
.LBB2_3:
	s_trap 2
.Lfunc_end2:
	.size	_ZN8migraphx4test4failEv, .Lfunc_end2-_ZN8migraphx4test4failEv
                                        ; -- End function
	.section	.AMDGPU.csdata,"",@progbits
; Function info:
; codeLenInByte = 232
; NumSgprs: 17
; NumVgprs: 3
; ScratchSize: 0
; MemoryBound: 0
	.text
	.p2align	2                               ; -- Begin function _ZL22equal_custom_predicateRN8migraphx4test12test_managerE
	.type	_ZL22equal_custom_predicateRN8migraphx4test12test_managerE,@function
_ZL22equal_custom_predicateRN8migraphx4test12test_managerE: ; @_ZL22equal_custom_predicateRN8migraphx4test12test_managerE
; %bb.0:
	s_waitcnt vmcnt(0) expcnt(0) lgkmcnt(0)
	s_mov_b32 s4, s33
	s_mov_b32 s33, s32
	s_or_saveexec_b32 s5, -1
	buffer_store_dword v40, off, s[0:3], s33 offset:24 ; 4-byte Folded Spill
	s_mov_b32 exec_lo, s5
	v_writelane_b32 v40, s4, 2
	v_writelane_b32 v40, s30, 0
	s_addk_i32 s32, 0x400
	v_writelane_b32 v40, s31, 1
	v_mov_b32_e32 v37, v1
	v_mov_b32_e32 v36, v0
	;; [unrolled: 1-line block ×5, first 2 shown]
	s_mov_b32 s5, 0
	s_mov_b32 s7, 0
	buffer_store_dword v0, off, s[0:3], s33
	buffer_store_dword v1, off, s[0:3], s33 offset:4
	buffer_store_dword v2, off, s[0:3], s33 offset:8
	v_mov_b32_e32 v2, 6
	v_mov_b32_e32 v0, 4
	buffer_store_dword v1, off, s[0:3], s33 offset:12
	buffer_store_dword v0, off, s[0:3], s33 offset:16
	;; [unrolled: 1-line block ×3, first 2 shown]
                                        ; implicit-def: $sgpr6
                                        ; implicit-def: $sgpr22
	.p2align	6
.LBB3_1:                                ; =>This Inner Loop Header: Depth=1
	v_lshrrev_b32_e64 v2, 5, s33
	v_lshrrev_b32_e64 v1, 5, s33
	s_add_i32 s4, s7, 4
	s_cmp_eq_u32 s7, 8
	s_cselect_b32 s10, -1, 0
	v_add_nc_u32_e32 v2, 12, v2
	v_add_nc_u32_e32 v0, s7, v1
	;; [unrolled: 1-line block ×3, first 2 shown]
	s_mov_b32 s7, s4
	s_clause 0x1
	buffer_load_dword v0, v0, s[0:3], 0 offen
	buffer_load_dword v1, v1, s[0:3], 0 offen
	s_waitcnt vmcnt(1)
	v_lshlrev_b32_e32 v0, 1, v0
	s_waitcnt vmcnt(0)
	v_cmp_ne_u32_e32 vcc_lo, v0, v1
	v_cmp_eq_u32_e64 s4, v0, v1
	s_or_b32 s10, vcc_lo, s10
	s_and_b32 s10, exec_lo, s10
	s_or_b32 s5, s10, s5
	s_andn2_b32 s10, s22, exec_lo
	s_and_b32 s4, s4, exec_lo
	s_andn2_b32 s6, s6, exec_lo
	s_and_b32 s11, vcc_lo, exec_lo
	s_or_b32 s22, s10, s4
	s_or_b32 s6, s6, s11
	s_andn2_b32 exec_lo, exec_lo, s5
	s_cbranch_execnz .LBB3_1
; %bb.2:
	s_or_b32 exec_lo, exec_lo, s5
	s_and_saveexec_b32 s4, s6
	s_xor_b32 s28, exec_lo, s4
	s_cbranch_execz .LBB3_1681
; %bb.3:
	v_and_b32_e32 v0, 0x3ff, v31
	s_mov_b32 s29, exec_lo
	v_cmpx_eq_u32_e32 0, v0
	s_cbranch_execz .LBB3_1680
; %bb.4:
	s_load_dwordx2 s[26:27], s[8:9], 0x50
	v_mbcnt_lo_u32_b32 v39, -1, 0
	v_mov_b32_e32 v6, 0
	v_mov_b32_e32 v7, 0
	v_readfirstlane_b32 s4, v39
	v_cmp_eq_u32_e64 s4, s4, v39
	s_and_saveexec_b32 s5, s4
	s_cbranch_execz .LBB3_10
; %bb.5:
	v_mov_b32_e32 v0, 0
	s_mov_b32 s6, exec_lo
	s_waitcnt lgkmcnt(0)
	global_load_dwordx2 v[3:4], v0, s[26:27] offset:24 glc dlc
	s_waitcnt vmcnt(0)
	buffer_gl1_inv
	buffer_gl0_inv
	s_clause 0x1
	global_load_dwordx2 v[1:2], v0, s[26:27] offset:40
	global_load_dwordx2 v[5:6], v0, s[26:27]
	s_waitcnt vmcnt(1)
	v_and_b32_e32 v2, v2, v4
	v_and_b32_e32 v1, v1, v3
	v_mul_lo_u32 v2, v2, 24
	v_mul_hi_u32 v7, v1, 24
	v_mul_lo_u32 v1, v1, 24
	v_add_nc_u32_e32 v2, v7, v2
	s_waitcnt vmcnt(0)
	v_add_co_u32 v1, vcc_lo, v5, v1
	v_add_co_ci_u32_e32 v2, vcc_lo, v6, v2, vcc_lo
	global_load_dwordx2 v[1:2], v[1:2], off glc dlc
	s_waitcnt vmcnt(0)
	global_atomic_cmpswap_x2 v[6:7], v0, v[1:4], s[26:27] offset:24 glc
	s_waitcnt vmcnt(0)
	buffer_gl1_inv
	buffer_gl0_inv
	v_cmpx_ne_u64_e64 v[6:7], v[3:4]
	s_cbranch_execz .LBB3_9
; %bb.6:
	s_mov_b32 s7, 0
	.p2align	6
.LBB3_7:                                ; =>This Inner Loop Header: Depth=1
	s_sleep 1
	s_clause 0x1
	global_load_dwordx2 v[1:2], v0, s[26:27] offset:40
	global_load_dwordx2 v[8:9], v0, s[26:27]
	v_mov_b32_e32 v3, v6
	v_mov_b32_e32 v4, v7
	s_waitcnt vmcnt(1)
	v_and_b32_e32 v1, v1, v3
	v_and_b32_e32 v2, v2, v4
	s_waitcnt vmcnt(0)
	v_mad_u64_u32 v[5:6], null, v1, 24, v[8:9]
	v_mov_b32_e32 v1, v6
	v_mad_u64_u32 v[1:2], null, v2, 24, v[1:2]
	v_mov_b32_e32 v6, v1
	global_load_dwordx2 v[1:2], v[5:6], off glc dlc
	s_waitcnt vmcnt(0)
	global_atomic_cmpswap_x2 v[6:7], v0, v[1:4], s[26:27] offset:24 glc
	s_waitcnt vmcnt(0)
	buffer_gl1_inv
	buffer_gl0_inv
	v_cmp_eq_u64_e32 vcc_lo, v[6:7], v[3:4]
	s_or_b32 s7, vcc_lo, s7
	s_andn2_b32 exec_lo, exec_lo, s7
	s_cbranch_execnz .LBB3_7
; %bb.8:
	s_or_b32 exec_lo, exec_lo, s7
.LBB3_9:
	s_or_b32 exec_lo, exec_lo, s6
.LBB3_10:
	s_or_b32 exec_lo, exec_lo, s5
	v_mov_b32_e32 v5, 0
	v_readfirstlane_b32 s6, v6
	v_readfirstlane_b32 s7, v7
	s_mov_b32 s5, exec_lo
	s_waitcnt lgkmcnt(0)
	s_clause 0x1
	global_load_dwordx2 v[8:9], v5, s[26:27] offset:40
	global_load_dwordx4 v[0:3], v5, s[26:27]
	s_waitcnt vmcnt(1)
	v_readfirstlane_b32 s10, v8
	v_readfirstlane_b32 s11, v9
	s_and_b64 s[10:11], s[6:7], s[10:11]
	s_mul_i32 s15, s11, 24
	s_mul_hi_u32 s16, s10, 24
	s_mul_i32 s17, s10, 24
	s_add_i32 s16, s16, s15
	s_waitcnt vmcnt(0)
	v_add_co_u32 v8, vcc_lo, v0, s17
	v_add_co_ci_u32_e32 v9, vcc_lo, s16, v1, vcc_lo
	s_and_saveexec_b32 s15, s4
	s_cbranch_execz .LBB3_12
; %bb.11:
	v_mov_b32_e32 v4, s5
	v_mov_b32_e32 v6, 2
	;; [unrolled: 1-line block ×3, first 2 shown]
	global_store_dwordx4 v[8:9], v[4:7], off offset:8
.LBB3_12:
	s_or_b32 exec_lo, exec_lo, s15
	s_lshl_b64 s[10:11], s[10:11], 12
	v_lshlrev_b32_e32 v38, 6, v39
	v_add_co_u32 v2, vcc_lo, v2, s10
	v_add_co_ci_u32_e32 v3, vcc_lo, s11, v3, vcc_lo
	s_mov_b32 s16, 0
	v_add_co_u32 v10, vcc_lo, v2, v38
	s_mov_b32 s17, s16
	s_mov_b32 s18, s16
	;; [unrolled: 1-line block ×3, first 2 shown]
	v_mov_b32_e32 v4, 33
	v_mov_b32_e32 v6, v5
	;; [unrolled: 1-line block ×3, first 2 shown]
	v_readfirstlane_b32 s10, v2
	v_readfirstlane_b32 s11, v3
	v_mov_b32_e32 v12, s16
	v_add_co_ci_u32_e32 v11, vcc_lo, 0, v3, vcc_lo
	v_mov_b32_e32 v13, s17
	v_mov_b32_e32 v14, s18
	;; [unrolled: 1-line block ×3, first 2 shown]
	global_store_dwordx4 v38, v[4:7], s[10:11]
	global_store_dwordx4 v38, v[12:15], s[10:11] offset:16
	global_store_dwordx4 v38, v[12:15], s[10:11] offset:32
	;; [unrolled: 1-line block ×3, first 2 shown]
	s_and_saveexec_b32 s5, s4
	s_cbranch_execz .LBB3_20
; %bb.13:
	v_mov_b32_e32 v6, 0
	v_mov_b32_e32 v12, s6
	;; [unrolled: 1-line block ×3, first 2 shown]
	s_mov_b32 s10, exec_lo
	s_clause 0x1
	global_load_dwordx2 v[14:15], v6, s[26:27] offset:32 glc dlc
	global_load_dwordx2 v[2:3], v6, s[26:27] offset:40
	s_waitcnt vmcnt(0)
	v_and_b32_e32 v3, s7, v3
	v_and_b32_e32 v2, s6, v2
	v_mul_lo_u32 v3, v3, 24
	v_mul_hi_u32 v4, v2, 24
	v_mul_lo_u32 v2, v2, 24
	v_add_nc_u32_e32 v3, v4, v3
	v_add_co_u32 v4, vcc_lo, v0, v2
	v_add_co_ci_u32_e32 v5, vcc_lo, v1, v3, vcc_lo
	global_store_dwordx2 v[4:5], v[14:15], off
	s_waitcnt_vscnt null, 0x0
	global_atomic_cmpswap_x2 v[2:3], v6, v[12:15], s[26:27] offset:32 glc
	s_waitcnt vmcnt(0)
	v_cmpx_ne_u64_e64 v[2:3], v[14:15]
	s_cbranch_execz .LBB3_16
; %bb.14:
	s_mov_b32 s11, 0
.LBB3_15:                               ; =>This Inner Loop Header: Depth=1
	v_mov_b32_e32 v0, s6
	v_mov_b32_e32 v1, s7
	s_sleep 1
	global_store_dwordx2 v[4:5], v[2:3], off
	s_waitcnt_vscnt null, 0x0
	global_atomic_cmpswap_x2 v[0:1], v6, v[0:3], s[26:27] offset:32 glc
	s_waitcnt vmcnt(0)
	v_cmp_eq_u64_e32 vcc_lo, v[0:1], v[2:3]
	v_mov_b32_e32 v3, v1
	v_mov_b32_e32 v2, v0
	s_or_b32 s11, vcc_lo, s11
	s_andn2_b32 exec_lo, exec_lo, s11
	s_cbranch_execnz .LBB3_15
.LBB3_16:
	s_or_b32 exec_lo, exec_lo, s10
	v_mov_b32_e32 v3, 0
	s_mov_b32 s11, exec_lo
	s_mov_b32 s10, exec_lo
	v_mbcnt_lo_u32_b32 v2, s11, 0
	global_load_dwordx2 v[0:1], v3, s[26:27] offset:16
	v_cmpx_eq_u32_e32 0, v2
	s_cbranch_execz .LBB3_18
; %bb.17:
	s_bcnt1_i32_b32 s11, s11
	v_mov_b32_e32 v2, s11
	s_waitcnt vmcnt(0)
	global_atomic_add_x2 v[0:1], v[2:3], off offset:8
.LBB3_18:
	s_or_b32 exec_lo, exec_lo, s10
	s_waitcnt vmcnt(0)
	global_load_dwordx2 v[2:3], v[0:1], off offset:16
	s_waitcnt vmcnt(0)
	v_cmp_eq_u64_e32 vcc_lo, 0, v[2:3]
	s_cbranch_vccnz .LBB3_20
; %bb.19:
	global_load_dword v0, v[0:1], off offset:24
	v_mov_b32_e32 v1, 0
	s_waitcnt vmcnt(0)
	v_and_b32_e32 v4, 0x7fffff, v0
	s_waitcnt_vscnt null, 0x0
	global_store_dwordx2 v[2:3], v[0:1], off
	v_readfirstlane_b32 m0, v4
	s_sendmsg sendmsg(MSG_INTERRUPT)
.LBB3_20:
	s_or_b32 exec_lo, exec_lo, s5
	s_branch .LBB3_24
	.p2align	6
.LBB3_21:                               ;   in Loop: Header=BB3_24 Depth=1
	s_or_b32 exec_lo, exec_lo, s5
	v_readfirstlane_b32 s5, v0
	s_cmp_eq_u32 s5, 0
	s_cbranch_scc1 .LBB3_23
; %bb.22:                               ;   in Loop: Header=BB3_24 Depth=1
	s_sleep 1
	s_cbranch_execnz .LBB3_24
	s_branch .LBB3_26
	.p2align	6
.LBB3_23:
	s_branch .LBB3_26
.LBB3_24:                               ; =>This Inner Loop Header: Depth=1
	v_mov_b32_e32 v0, 1
	s_and_saveexec_b32 s5, s4
	s_cbranch_execz .LBB3_21
; %bb.25:                               ;   in Loop: Header=BB3_24 Depth=1
	global_load_dword v0, v[8:9], off offset:20 glc dlc
	s_waitcnt vmcnt(0)
	buffer_gl1_inv
	buffer_gl0_inv
	v_and_b32_e32 v0, 1, v0
	s_branch .LBB3_21
.LBB3_26:
	global_load_dwordx2 v[4:5], v[10:11], off
	s_and_saveexec_b32 s5, s4
	s_cbranch_execz .LBB3_30
; %bb.27:
	v_mov_b32_e32 v8, 0
	s_clause 0x2
	global_load_dwordx2 v[2:3], v8, s[26:27] offset:40
	global_load_dwordx2 v[9:10], v8, s[26:27] offset:24 glc dlc
	global_load_dwordx2 v[6:7], v8, s[26:27]
	s_waitcnt vmcnt(2)
	v_add_co_u32 v11, vcc_lo, v2, 1
	v_add_co_ci_u32_e32 v12, vcc_lo, 0, v3, vcc_lo
	v_add_co_u32 v0, vcc_lo, v11, s6
	v_add_co_ci_u32_e32 v1, vcc_lo, s7, v12, vcc_lo
	v_cmp_eq_u64_e32 vcc_lo, 0, v[0:1]
	v_cndmask_b32_e32 v1, v1, v12, vcc_lo
	v_cndmask_b32_e32 v0, v0, v11, vcc_lo
	v_and_b32_e32 v3, v1, v3
	v_and_b32_e32 v2, v0, v2
	v_mul_lo_u32 v3, v3, 24
	v_mul_hi_u32 v11, v2, 24
	v_mul_lo_u32 v2, v2, 24
	v_add_nc_u32_e32 v3, v11, v3
	s_waitcnt vmcnt(0)
	v_add_co_u32 v6, vcc_lo, v6, v2
	v_mov_b32_e32 v2, v9
	v_add_co_ci_u32_e32 v7, vcc_lo, v7, v3, vcc_lo
	v_mov_b32_e32 v3, v10
	global_store_dwordx2 v[6:7], v[9:10], off
	s_waitcnt_vscnt null, 0x0
	global_atomic_cmpswap_x2 v[2:3], v8, v[0:3], s[26:27] offset:24 glc
	s_waitcnt vmcnt(0)
	v_cmp_ne_u64_e32 vcc_lo, v[2:3], v[9:10]
	s_and_b32 exec_lo, exec_lo, vcc_lo
	s_cbranch_execz .LBB3_30
; %bb.28:
	s_mov_b32 s4, 0
.LBB3_29:                               ; =>This Inner Loop Header: Depth=1
	s_sleep 1
	global_store_dwordx2 v[6:7], v[2:3], off
	s_waitcnt_vscnt null, 0x0
	global_atomic_cmpswap_x2 v[9:10], v8, v[0:3], s[26:27] offset:24 glc
	s_waitcnt vmcnt(0)
	v_cmp_eq_u64_e32 vcc_lo, v[9:10], v[2:3]
	v_mov_b32_e32 v2, v9
	v_mov_b32_e32 v3, v10
	s_or_b32 s4, vcc_lo, s4
	s_andn2_b32 exec_lo, exec_lo, s4
	s_cbranch_execnz .LBB3_29
.LBB3_30:
	s_or_b32 exec_lo, exec_lo, s5
	s_getpc_b64 s[6:7]
	s_add_u32 s6, s6, .str.5@rel32@lo+4
	s_addc_u32 s7, s7, .str.5@rel32@hi+12
	s_cmp_lg_u64 s[6:7], 0
	s_cselect_b32 s15, -1, 0
	s_and_b32 vcc_lo, exec_lo, s15
	s_cbranch_vccz .LBB3_109
; %bb.31:
	s_waitcnt vmcnt(0)
	v_and_b32_e32 v28, 2, v4
	v_mov_b32_e32 v7, 0
	v_and_b32_e32 v0, -3, v4
	v_mov_b32_e32 v1, v5
	v_mov_b32_e32 v8, 2
	;; [unrolled: 1-line block ×3, first 2 shown]
	s_mov_b64 s[10:11], 3
	s_branch .LBB3_33
.LBB3_32:                               ;   in Loop: Header=BB3_33 Depth=1
	s_or_b32 exec_lo, exec_lo, s5
	s_sub_u32 s10, s10, s16
	s_subb_u32 s11, s11, s17
	s_add_u32 s6, s6, s16
	s_addc_u32 s7, s7, s17
	s_cmp_lg_u64 s[10:11], 0
	s_cbranch_scc0 .LBB3_108
.LBB3_33:                               ; =>This Loop Header: Depth=1
                                        ;     Child Loop BB3_42 Depth 2
                                        ;     Child Loop BB3_38 Depth 2
	;; [unrolled: 1-line block ×11, first 2 shown]
	v_cmp_lt_u64_e64 s4, s[10:11], 56
	v_cmp_gt_u64_e64 s5, s[10:11], 7
                                        ; implicit-def: $vgpr2_vgpr3
                                        ; implicit-def: $sgpr23
	s_and_b32 s4, s4, exec_lo
	s_cselect_b32 s17, s11, 0
	s_cselect_b32 s16, s10, 56
	s_and_b32 vcc_lo, exec_lo, s5
	s_mov_b32 s4, -1
	s_cbranch_vccz .LBB3_40
; %bb.34:                               ;   in Loop: Header=BB3_33 Depth=1
	s_andn2_b32 vcc_lo, exec_lo, s4
	s_mov_b64 s[4:5], s[6:7]
	s_cbranch_vccz .LBB3_44
.LBB3_35:                               ;   in Loop: Header=BB3_33 Depth=1
	s_cmp_gt_u32 s23, 7
	s_cbranch_scc1 .LBB3_45
.LBB3_36:                               ;   in Loop: Header=BB3_33 Depth=1
	v_mov_b32_e32 v10, 0
	v_mov_b32_e32 v11, 0
	s_cmp_eq_u32 s23, 0
	s_cbranch_scc1 .LBB3_39
; %bb.37:                               ;   in Loop: Header=BB3_33 Depth=1
	s_mov_b64 s[18:19], 0
	s_mov_b64 s[20:21], 0
.LBB3_38:                               ;   Parent Loop BB3_33 Depth=1
                                        ; =>  This Inner Loop Header: Depth=2
	s_add_u32 s24, s4, s20
	s_addc_u32 s25, s5, s21
	s_add_u32 s20, s20, 1
	global_load_ubyte v6, v7, s[24:25]
	s_addc_u32 s21, s21, 0
	s_waitcnt vmcnt(0)
	v_and_b32_e32 v6, 0xffff, v6
	v_lshlrev_b64 v[12:13], s18, v[6:7]
	s_add_u32 s18, s18, 8
	s_addc_u32 s19, s19, 0
	s_cmp_lg_u32 s23, s20
	v_or_b32_e32 v10, v12, v10
	v_or_b32_e32 v11, v13, v11
	s_cbranch_scc1 .LBB3_38
.LBB3_39:                               ;   in Loop: Header=BB3_33 Depth=1
	s_mov_b32 s24, 0
	s_cbranch_execz .LBB3_46
	s_branch .LBB3_47
.LBB3_40:                               ;   in Loop: Header=BB3_33 Depth=1
	s_waitcnt vmcnt(0)
	v_mov_b32_e32 v2, 0
	v_mov_b32_e32 v3, 0
	s_cmp_eq_u64 s[10:11], 0
	s_mov_b64 s[4:5], 0
	s_cbranch_scc1 .LBB3_43
; %bb.41:                               ;   in Loop: Header=BB3_33 Depth=1
	v_mov_b32_e32 v2, 0
	v_mov_b32_e32 v3, 0
	s_lshl_b64 s[18:19], s[16:17], 3
	s_mov_b64 s[20:21], s[6:7]
.LBB3_42:                               ;   Parent Loop BB3_33 Depth=1
                                        ; =>  This Inner Loop Header: Depth=2
	global_load_ubyte v6, v7, s[20:21]
	s_waitcnt vmcnt(0)
	v_and_b32_e32 v6, 0xffff, v6
	v_lshlrev_b64 v[10:11], s4, v[6:7]
	s_add_u32 s4, s4, 8
	s_addc_u32 s5, s5, 0
	s_add_u32 s20, s20, 1
	s_addc_u32 s21, s21, 0
	s_cmp_lg_u32 s18, s4
	v_or_b32_e32 v2, v10, v2
	v_or_b32_e32 v3, v11, v3
	s_cbranch_scc1 .LBB3_42
.LBB3_43:                               ;   in Loop: Header=BB3_33 Depth=1
	s_mov_b32 s23, 0
	s_mov_b64 s[4:5], s[6:7]
	s_cbranch_execnz .LBB3_35
.LBB3_44:                               ;   in Loop: Header=BB3_33 Depth=1
	global_load_dwordx2 v[2:3], v7, s[6:7]
	s_add_i32 s23, s16, -8
	s_add_u32 s4, s6, 8
	s_addc_u32 s5, s7, 0
	s_cmp_gt_u32 s23, 7
	s_cbranch_scc0 .LBB3_36
.LBB3_45:                               ;   in Loop: Header=BB3_33 Depth=1
                                        ; implicit-def: $vgpr10_vgpr11
                                        ; implicit-def: $sgpr24
.LBB3_46:                               ;   in Loop: Header=BB3_33 Depth=1
	global_load_dwordx2 v[10:11], v7, s[4:5]
	s_add_i32 s24, s23, -8
	s_add_u32 s4, s4, 8
	s_addc_u32 s5, s5, 0
.LBB3_47:                               ;   in Loop: Header=BB3_33 Depth=1
	s_cmp_gt_u32 s24, 7
	s_cbranch_scc1 .LBB3_52
; %bb.48:                               ;   in Loop: Header=BB3_33 Depth=1
	v_mov_b32_e32 v12, 0
	v_mov_b32_e32 v13, 0
	s_cmp_eq_u32 s24, 0
	s_cbranch_scc1 .LBB3_51
; %bb.49:                               ;   in Loop: Header=BB3_33 Depth=1
	s_mov_b64 s[18:19], 0
	s_mov_b64 s[20:21], 0
.LBB3_50:                               ;   Parent Loop BB3_33 Depth=1
                                        ; =>  This Inner Loop Header: Depth=2
	s_add_u32 vcc_lo, s4, s20
	s_addc_u32 vcc_hi, s5, s21
	s_add_u32 s20, s20, 1
	global_load_ubyte v6, v7, vcc
	s_addc_u32 s21, s21, 0
	s_waitcnt vmcnt(0)
	v_and_b32_e32 v6, 0xffff, v6
	v_lshlrev_b64 v[14:15], s18, v[6:7]
	s_add_u32 s18, s18, 8
	s_addc_u32 s19, s19, 0
	s_cmp_lg_u32 s24, s20
	v_or_b32_e32 v12, v14, v12
	v_or_b32_e32 v13, v15, v13
	s_cbranch_scc1 .LBB3_50
.LBB3_51:                               ;   in Loop: Header=BB3_33 Depth=1
	s_mov_b32 s23, 0
	s_cbranch_execz .LBB3_53
	s_branch .LBB3_54
.LBB3_52:                               ;   in Loop: Header=BB3_33 Depth=1
                                        ; implicit-def: $sgpr23
.LBB3_53:                               ;   in Loop: Header=BB3_33 Depth=1
	global_load_dwordx2 v[12:13], v7, s[4:5]
	s_add_i32 s23, s24, -8
	s_add_u32 s4, s4, 8
	s_addc_u32 s5, s5, 0
.LBB3_54:                               ;   in Loop: Header=BB3_33 Depth=1
	s_cmp_gt_u32 s23, 7
	s_cbranch_scc1 .LBB3_59
; %bb.55:                               ;   in Loop: Header=BB3_33 Depth=1
	v_mov_b32_e32 v14, 0
	v_mov_b32_e32 v15, 0
	s_cmp_eq_u32 s23, 0
	s_cbranch_scc1 .LBB3_58
; %bb.56:                               ;   in Loop: Header=BB3_33 Depth=1
	s_mov_b64 s[18:19], 0
	s_mov_b64 s[20:21], 0
.LBB3_57:                               ;   Parent Loop BB3_33 Depth=1
                                        ; =>  This Inner Loop Header: Depth=2
	s_add_u32 s24, s4, s20
	s_addc_u32 s25, s5, s21
	s_add_u32 s20, s20, 1
	global_load_ubyte v6, v7, s[24:25]
	s_addc_u32 s21, s21, 0
	s_waitcnt vmcnt(0)
	v_and_b32_e32 v6, 0xffff, v6
	v_lshlrev_b64 v[16:17], s18, v[6:7]
	s_add_u32 s18, s18, 8
	s_addc_u32 s19, s19, 0
	s_cmp_lg_u32 s23, s20
	v_or_b32_e32 v14, v16, v14
	v_or_b32_e32 v15, v17, v15
	s_cbranch_scc1 .LBB3_57
.LBB3_58:                               ;   in Loop: Header=BB3_33 Depth=1
	s_mov_b32 s24, 0
	s_cbranch_execz .LBB3_60
	s_branch .LBB3_61
.LBB3_59:                               ;   in Loop: Header=BB3_33 Depth=1
                                        ; implicit-def: $vgpr14_vgpr15
                                        ; implicit-def: $sgpr24
.LBB3_60:                               ;   in Loop: Header=BB3_33 Depth=1
	global_load_dwordx2 v[14:15], v7, s[4:5]
	s_add_i32 s24, s23, -8
	s_add_u32 s4, s4, 8
	s_addc_u32 s5, s5, 0
.LBB3_61:                               ;   in Loop: Header=BB3_33 Depth=1
	s_cmp_gt_u32 s24, 7
	s_cbranch_scc1 .LBB3_66
; %bb.62:                               ;   in Loop: Header=BB3_33 Depth=1
	v_mov_b32_e32 v16, 0
	v_mov_b32_e32 v17, 0
	s_cmp_eq_u32 s24, 0
	s_cbranch_scc1 .LBB3_65
; %bb.63:                               ;   in Loop: Header=BB3_33 Depth=1
	s_mov_b64 s[18:19], 0
	s_mov_b64 s[20:21], 0
.LBB3_64:                               ;   Parent Loop BB3_33 Depth=1
                                        ; =>  This Inner Loop Header: Depth=2
	s_add_u32 vcc_lo, s4, s20
	s_addc_u32 vcc_hi, s5, s21
	s_add_u32 s20, s20, 1
	global_load_ubyte v6, v7, vcc
	s_addc_u32 s21, s21, 0
	s_waitcnt vmcnt(0)
	v_and_b32_e32 v6, 0xffff, v6
	v_lshlrev_b64 v[18:19], s18, v[6:7]
	s_add_u32 s18, s18, 8
	s_addc_u32 s19, s19, 0
	s_cmp_lg_u32 s24, s20
	v_or_b32_e32 v16, v18, v16
	v_or_b32_e32 v17, v19, v17
	s_cbranch_scc1 .LBB3_64
.LBB3_65:                               ;   in Loop: Header=BB3_33 Depth=1
	s_mov_b32 s23, 0
	s_cbranch_execz .LBB3_67
	s_branch .LBB3_68
.LBB3_66:                               ;   in Loop: Header=BB3_33 Depth=1
                                        ; implicit-def: $sgpr23
.LBB3_67:                               ;   in Loop: Header=BB3_33 Depth=1
	global_load_dwordx2 v[16:17], v7, s[4:5]
	s_add_i32 s23, s24, -8
	s_add_u32 s4, s4, 8
	s_addc_u32 s5, s5, 0
.LBB3_68:                               ;   in Loop: Header=BB3_33 Depth=1
	s_cmp_gt_u32 s23, 7
	s_cbranch_scc1 .LBB3_73
; %bb.69:                               ;   in Loop: Header=BB3_33 Depth=1
	v_mov_b32_e32 v18, 0
	v_mov_b32_e32 v19, 0
	s_cmp_eq_u32 s23, 0
	s_cbranch_scc1 .LBB3_72
; %bb.70:                               ;   in Loop: Header=BB3_33 Depth=1
	s_mov_b64 s[18:19], 0
	s_mov_b64 s[20:21], 0
.LBB3_71:                               ;   Parent Loop BB3_33 Depth=1
                                        ; =>  This Inner Loop Header: Depth=2
	s_add_u32 s24, s4, s20
	s_addc_u32 s25, s5, s21
	s_add_u32 s20, s20, 1
	global_load_ubyte v6, v7, s[24:25]
	s_addc_u32 s21, s21, 0
	s_waitcnt vmcnt(0)
	v_and_b32_e32 v6, 0xffff, v6
	v_lshlrev_b64 v[20:21], s18, v[6:7]
	s_add_u32 s18, s18, 8
	s_addc_u32 s19, s19, 0
	s_cmp_lg_u32 s23, s20
	v_or_b32_e32 v18, v20, v18
	v_or_b32_e32 v19, v21, v19
	s_cbranch_scc1 .LBB3_71
.LBB3_72:                               ;   in Loop: Header=BB3_33 Depth=1
	s_mov_b32 s24, 0
	s_cbranch_execz .LBB3_74
	s_branch .LBB3_75
.LBB3_73:                               ;   in Loop: Header=BB3_33 Depth=1
                                        ; implicit-def: $vgpr18_vgpr19
                                        ; implicit-def: $sgpr24
.LBB3_74:                               ;   in Loop: Header=BB3_33 Depth=1
	global_load_dwordx2 v[18:19], v7, s[4:5]
	s_add_i32 s24, s23, -8
	s_add_u32 s4, s4, 8
	s_addc_u32 s5, s5, 0
.LBB3_75:                               ;   in Loop: Header=BB3_33 Depth=1
	s_cmp_gt_u32 s24, 7
	s_cbranch_scc1 .LBB3_80
; %bb.76:                               ;   in Loop: Header=BB3_33 Depth=1
	v_mov_b32_e32 v20, 0
	v_mov_b32_e32 v21, 0
	s_cmp_eq_u32 s24, 0
	s_cbranch_scc1 .LBB3_79
; %bb.77:                               ;   in Loop: Header=BB3_33 Depth=1
	s_mov_b64 s[18:19], 0
	s_mov_b64 s[20:21], s[4:5]
.LBB3_78:                               ;   Parent Loop BB3_33 Depth=1
                                        ; =>  This Inner Loop Header: Depth=2
	global_load_ubyte v6, v7, s[20:21]
	s_add_i32 s24, s24, -1
	s_waitcnt vmcnt(0)
	v_and_b32_e32 v6, 0xffff, v6
	v_lshlrev_b64 v[22:23], s18, v[6:7]
	s_add_u32 s18, s18, 8
	s_addc_u32 s19, s19, 0
	s_add_u32 s20, s20, 1
	s_addc_u32 s21, s21, 0
	s_cmp_lg_u32 s24, 0
	v_or_b32_e32 v20, v22, v20
	v_or_b32_e32 v21, v23, v21
	s_cbranch_scc1 .LBB3_78
.LBB3_79:                               ;   in Loop: Header=BB3_33 Depth=1
	s_cbranch_execz .LBB3_81
	s_branch .LBB3_82
.LBB3_80:                               ;   in Loop: Header=BB3_33 Depth=1
.LBB3_81:                               ;   in Loop: Header=BB3_33 Depth=1
	global_load_dwordx2 v[20:21], v7, s[4:5]
.LBB3_82:                               ;   in Loop: Header=BB3_33 Depth=1
	v_readfirstlane_b32 s4, v39
	v_mov_b32_e32 v26, 0
	v_mov_b32_e32 v27, 0
	v_cmp_eq_u32_e64 s4, s4, v39
	s_and_saveexec_b32 s5, s4
	s_cbranch_execz .LBB3_88
; %bb.83:                               ;   in Loop: Header=BB3_33 Depth=1
	global_load_dwordx2 v[24:25], v7, s[26:27] offset:24 glc dlc
	s_waitcnt vmcnt(0)
	buffer_gl1_inv
	buffer_gl0_inv
	s_clause 0x1
	global_load_dwordx2 v[22:23], v7, s[26:27] offset:40
	global_load_dwordx2 v[26:27], v7, s[26:27]
	s_mov_b32 s18, exec_lo
	s_waitcnt vmcnt(1)
	v_and_b32_e32 v6, v23, v25
	v_and_b32_e32 v22, v22, v24
	v_mul_lo_u32 v6, v6, 24
	v_mul_hi_u32 v23, v22, 24
	v_mul_lo_u32 v22, v22, 24
	v_add_nc_u32_e32 v6, v23, v6
	s_waitcnt vmcnt(0)
	v_add_co_u32 v22, vcc_lo, v26, v22
	v_add_co_ci_u32_e32 v23, vcc_lo, v27, v6, vcc_lo
	global_load_dwordx2 v[22:23], v[22:23], off glc dlc
	s_waitcnt vmcnt(0)
	global_atomic_cmpswap_x2 v[26:27], v7, v[22:25], s[26:27] offset:24 glc
	s_waitcnt vmcnt(0)
	buffer_gl1_inv
	buffer_gl0_inv
	v_cmpx_ne_u64_e64 v[26:27], v[24:25]
	s_cbranch_execz .LBB3_87
; %bb.84:                               ;   in Loop: Header=BB3_33 Depth=1
	s_mov_b32 s19, 0
	.p2align	6
.LBB3_85:                               ;   Parent Loop BB3_33 Depth=1
                                        ; =>  This Inner Loop Header: Depth=2
	s_sleep 1
	s_clause 0x1
	global_load_dwordx2 v[22:23], v7, s[26:27] offset:40
	global_load_dwordx2 v[29:30], v7, s[26:27]
	v_mov_b32_e32 v24, v26
	v_mov_b32_e32 v25, v27
	s_waitcnt vmcnt(1)
	v_and_b32_e32 v6, v22, v24
	v_and_b32_e32 v22, v23, v25
	s_waitcnt vmcnt(0)
	v_mad_u64_u32 v[26:27], null, v6, 24, v[29:30]
	v_mov_b32_e32 v6, v27
	v_mad_u64_u32 v[22:23], null, v22, 24, v[6:7]
	v_mov_b32_e32 v27, v22
	global_load_dwordx2 v[22:23], v[26:27], off glc dlc
	s_waitcnt vmcnt(0)
	global_atomic_cmpswap_x2 v[26:27], v7, v[22:25], s[26:27] offset:24 glc
	s_waitcnt vmcnt(0)
	buffer_gl1_inv
	buffer_gl0_inv
	v_cmp_eq_u64_e32 vcc_lo, v[26:27], v[24:25]
	s_or_b32 s19, vcc_lo, s19
	s_andn2_b32 exec_lo, exec_lo, s19
	s_cbranch_execnz .LBB3_85
; %bb.86:                               ;   in Loop: Header=BB3_33 Depth=1
	s_or_b32 exec_lo, exec_lo, s19
.LBB3_87:                               ;   in Loop: Header=BB3_33 Depth=1
	s_or_b32 exec_lo, exec_lo, s18
.LBB3_88:                               ;   in Loop: Header=BB3_33 Depth=1
	s_or_b32 exec_lo, exec_lo, s5
	s_clause 0x1
	global_load_dwordx2 v[29:30], v7, s[26:27] offset:40
	global_load_dwordx4 v[22:25], v7, s[26:27]
	v_readfirstlane_b32 s18, v26
	v_readfirstlane_b32 s19, v27
	s_mov_b32 s5, exec_lo
	s_waitcnt vmcnt(1)
	v_readfirstlane_b32 s20, v29
	v_readfirstlane_b32 s21, v30
	s_and_b64 s[20:21], s[18:19], s[20:21]
	s_mul_i32 s23, s21, 24
	s_mul_hi_u32 s24, s20, 24
	s_mul_i32 s25, s20, 24
	s_add_i32 s24, s24, s23
	s_waitcnt vmcnt(0)
	v_add_co_u32 v26, vcc_lo, v22, s25
	v_add_co_ci_u32_e32 v27, vcc_lo, s24, v23, vcc_lo
	s_and_saveexec_b32 s23, s4
	s_cbranch_execz .LBB3_90
; %bb.89:                               ;   in Loop: Header=BB3_33 Depth=1
	v_mov_b32_e32 v6, s5
	global_store_dwordx4 v[26:27], v[6:9], off offset:8
.LBB3_90:                               ;   in Loop: Header=BB3_33 Depth=1
	s_or_b32 exec_lo, exec_lo, s23
	s_lshl_b64 s[20:21], s[20:21], 12
	v_cmp_gt_u64_e64 vcc_lo, s[10:11], 56
	v_or_b32_e32 v29, v0, v28
	v_add_co_u32 v24, s5, v24, s20
	v_add_co_ci_u32_e64 v25, s5, s21, v25, s5
	s_lshl_b32 s5, s16, 2
	v_or_b32_e32 v6, 0, v1
	v_cndmask_b32_e32 v0, v29, v0, vcc_lo
	s_add_i32 s5, s5, 28
	v_readfirstlane_b32 s20, v24
	s_and_b32 s5, s5, 0x1e0
	v_cndmask_b32_e32 v1, v6, v1, vcc_lo
	v_readfirstlane_b32 s21, v25
	v_and_or_b32 v0, 0xffffff1f, v0, s5
	global_store_dwordx4 v38, v[0:3], s[20:21]
	global_store_dwordx4 v38, v[10:13], s[20:21] offset:16
	global_store_dwordx4 v38, v[14:17], s[20:21] offset:32
	;; [unrolled: 1-line block ×3, first 2 shown]
	s_and_saveexec_b32 s5, s4
	s_cbranch_execz .LBB3_98
; %bb.91:                               ;   in Loop: Header=BB3_33 Depth=1
	s_clause 0x1
	global_load_dwordx2 v[14:15], v7, s[26:27] offset:32 glc dlc
	global_load_dwordx2 v[0:1], v7, s[26:27] offset:40
	v_mov_b32_e32 v12, s18
	v_mov_b32_e32 v13, s19
	s_waitcnt vmcnt(0)
	v_readfirstlane_b32 s20, v0
	v_readfirstlane_b32 s21, v1
	s_and_b64 s[20:21], s[20:21], s[18:19]
	s_mul_i32 s21, s21, 24
	s_mul_hi_u32 s23, s20, 24
	s_mul_i32 s20, s20, 24
	s_add_i32 s23, s23, s21
	v_add_co_u32 v10, vcc_lo, v22, s20
	v_add_co_ci_u32_e32 v11, vcc_lo, s23, v23, vcc_lo
	s_mov_b32 s20, exec_lo
	global_store_dwordx2 v[10:11], v[14:15], off
	s_waitcnt_vscnt null, 0x0
	global_atomic_cmpswap_x2 v[2:3], v7, v[12:15], s[26:27] offset:32 glc
	s_waitcnt vmcnt(0)
	v_cmpx_ne_u64_e64 v[2:3], v[14:15]
	s_cbranch_execz .LBB3_94
; %bb.92:                               ;   in Loop: Header=BB3_33 Depth=1
	s_mov_b32 s21, 0
.LBB3_93:                               ;   Parent Loop BB3_33 Depth=1
                                        ; =>  This Inner Loop Header: Depth=2
	v_mov_b32_e32 v0, s18
	v_mov_b32_e32 v1, s19
	s_sleep 1
	global_store_dwordx2 v[10:11], v[2:3], off
	s_waitcnt_vscnt null, 0x0
	global_atomic_cmpswap_x2 v[0:1], v7, v[0:3], s[26:27] offset:32 glc
	s_waitcnt vmcnt(0)
	v_cmp_eq_u64_e32 vcc_lo, v[0:1], v[2:3]
	v_mov_b32_e32 v3, v1
	v_mov_b32_e32 v2, v0
	s_or_b32 s21, vcc_lo, s21
	s_andn2_b32 exec_lo, exec_lo, s21
	s_cbranch_execnz .LBB3_93
.LBB3_94:                               ;   in Loop: Header=BB3_33 Depth=1
	s_or_b32 exec_lo, exec_lo, s20
	global_load_dwordx2 v[0:1], v7, s[26:27] offset:16
	s_mov_b32 s21, exec_lo
	s_mov_b32 s20, exec_lo
	v_mbcnt_lo_u32_b32 v2, s21, 0
	v_cmpx_eq_u32_e32 0, v2
	s_cbranch_execz .LBB3_96
; %bb.95:                               ;   in Loop: Header=BB3_33 Depth=1
	s_bcnt1_i32_b32 s21, s21
	v_mov_b32_e32 v6, s21
	s_waitcnt vmcnt(0)
	global_atomic_add_x2 v[0:1], v[6:7], off offset:8
.LBB3_96:                               ;   in Loop: Header=BB3_33 Depth=1
	s_or_b32 exec_lo, exec_lo, s20
	s_waitcnt vmcnt(0)
	global_load_dwordx2 v[2:3], v[0:1], off offset:16
	s_waitcnt vmcnt(0)
	v_cmp_eq_u64_e32 vcc_lo, 0, v[2:3]
	s_cbranch_vccnz .LBB3_98
; %bb.97:                               ;   in Loop: Header=BB3_33 Depth=1
	global_load_dword v6, v[0:1], off offset:24
	s_waitcnt vmcnt(0)
	v_and_b32_e32 v0, 0x7fffff, v6
	s_waitcnt_vscnt null, 0x0
	global_store_dwordx2 v[2:3], v[6:7], off
	v_readfirstlane_b32 m0, v0
	s_sendmsg sendmsg(MSG_INTERRUPT)
.LBB3_98:                               ;   in Loop: Header=BB3_33 Depth=1
	s_or_b32 exec_lo, exec_lo, s5
	v_add_co_u32 v0, vcc_lo, v24, v38
	v_add_co_ci_u32_e32 v1, vcc_lo, 0, v25, vcc_lo
	s_branch .LBB3_102
	.p2align	6
.LBB3_99:                               ;   in Loop: Header=BB3_102 Depth=2
	s_or_b32 exec_lo, exec_lo, s5
	v_readfirstlane_b32 s5, v2
	s_cmp_eq_u32 s5, 0
	s_cbranch_scc1 .LBB3_101
; %bb.100:                              ;   in Loop: Header=BB3_102 Depth=2
	s_sleep 1
	s_cbranch_execnz .LBB3_102
	s_branch .LBB3_104
	.p2align	6
.LBB3_101:                              ;   in Loop: Header=BB3_33 Depth=1
	s_branch .LBB3_104
.LBB3_102:                              ;   Parent Loop BB3_33 Depth=1
                                        ; =>  This Inner Loop Header: Depth=2
	v_mov_b32_e32 v2, 1
	s_and_saveexec_b32 s5, s4
	s_cbranch_execz .LBB3_99
; %bb.103:                              ;   in Loop: Header=BB3_102 Depth=2
	global_load_dword v2, v[26:27], off offset:20 glc dlc
	s_waitcnt vmcnt(0)
	buffer_gl1_inv
	buffer_gl0_inv
	v_and_b32_e32 v2, 1, v2
	s_branch .LBB3_99
.LBB3_104:                              ;   in Loop: Header=BB3_33 Depth=1
	global_load_dwordx4 v[0:3], v[0:1], off
	s_and_saveexec_b32 s5, s4
	s_cbranch_execz .LBB3_32
; %bb.105:                              ;   in Loop: Header=BB3_33 Depth=1
	s_clause 0x2
	global_load_dwordx2 v[2:3], v7, s[26:27] offset:40
	global_load_dwordx2 v[14:15], v7, s[26:27] offset:24 glc dlc
	global_load_dwordx2 v[12:13], v7, s[26:27]
	s_waitcnt vmcnt(2)
	v_add_co_u32 v6, vcc_lo, v2, 1
	v_add_co_ci_u32_e32 v16, vcc_lo, 0, v3, vcc_lo
	v_add_co_u32 v10, vcc_lo, v6, s18
	v_add_co_ci_u32_e32 v11, vcc_lo, s19, v16, vcc_lo
	v_cmp_eq_u64_e32 vcc_lo, 0, v[10:11]
	v_cndmask_b32_e32 v11, v11, v16, vcc_lo
	v_cndmask_b32_e32 v10, v10, v6, vcc_lo
	v_and_b32_e32 v3, v11, v3
	v_and_b32_e32 v2, v10, v2
	v_mul_lo_u32 v3, v3, 24
	v_mul_hi_u32 v6, v2, 24
	v_mul_lo_u32 v2, v2, 24
	v_add_nc_u32_e32 v3, v6, v3
	s_waitcnt vmcnt(0)
	v_add_co_u32 v2, vcc_lo, v12, v2
	v_mov_b32_e32 v12, v14
	v_add_co_ci_u32_e32 v3, vcc_lo, v13, v3, vcc_lo
	v_mov_b32_e32 v13, v15
	global_store_dwordx2 v[2:3], v[14:15], off
	s_waitcnt_vscnt null, 0x0
	global_atomic_cmpswap_x2 v[12:13], v7, v[10:13], s[26:27] offset:24 glc
	s_waitcnt vmcnt(0)
	v_cmp_ne_u64_e32 vcc_lo, v[12:13], v[14:15]
	s_and_b32 exec_lo, exec_lo, vcc_lo
	s_cbranch_execz .LBB3_32
; %bb.106:                              ;   in Loop: Header=BB3_33 Depth=1
	s_mov_b32 s4, 0
.LBB3_107:                              ;   Parent Loop BB3_33 Depth=1
                                        ; =>  This Inner Loop Header: Depth=2
	s_sleep 1
	global_store_dwordx2 v[2:3], v[12:13], off
	s_waitcnt_vscnt null, 0x0
	global_atomic_cmpswap_x2 v[14:15], v7, v[10:13], s[26:27] offset:24 glc
	s_waitcnt vmcnt(0)
	v_cmp_eq_u64_e32 vcc_lo, v[14:15], v[12:13]
	v_mov_b32_e32 v12, v14
	v_mov_b32_e32 v13, v15
	s_or_b32 s4, vcc_lo, s4
	s_andn2_b32 exec_lo, exec_lo, s4
	s_cbranch_execnz .LBB3_107
	s_branch .LBB3_32
.LBB3_108:
	s_branch .LBB3_137
.LBB3_109:
                                        ; implicit-def: $vgpr0_vgpr1
	s_cbranch_execz .LBB3_137
; %bb.110:
	v_readfirstlane_b32 s4, v39
	v_mov_b32_e32 v7, 0
	v_mov_b32_e32 v8, 0
	v_cmp_eq_u32_e64 s4, s4, v39
	s_and_saveexec_b32 s5, s4
	s_cbranch_execz .LBB3_116
; %bb.111:
	s_waitcnt vmcnt(0)
	v_mov_b32_e32 v0, 0
	s_mov_b32 s6, exec_lo
	global_load_dwordx2 v[9:10], v0, s[26:27] offset:24 glc dlc
	s_waitcnt vmcnt(0)
	buffer_gl1_inv
	buffer_gl0_inv
	s_clause 0x1
	global_load_dwordx2 v[1:2], v0, s[26:27] offset:40
	global_load_dwordx2 v[6:7], v0, s[26:27]
	s_waitcnt vmcnt(1)
	v_and_b32_e32 v2, v2, v10
	v_and_b32_e32 v1, v1, v9
	v_mul_lo_u32 v2, v2, 24
	v_mul_hi_u32 v3, v1, 24
	v_mul_lo_u32 v1, v1, 24
	v_add_nc_u32_e32 v2, v3, v2
	s_waitcnt vmcnt(0)
	v_add_co_u32 v1, vcc_lo, v6, v1
	v_add_co_ci_u32_e32 v2, vcc_lo, v7, v2, vcc_lo
	global_load_dwordx2 v[7:8], v[1:2], off glc dlc
	s_waitcnt vmcnt(0)
	global_atomic_cmpswap_x2 v[7:8], v0, v[7:10], s[26:27] offset:24 glc
	s_waitcnt vmcnt(0)
	buffer_gl1_inv
	buffer_gl0_inv
	v_cmpx_ne_u64_e64 v[7:8], v[9:10]
	s_cbranch_execz .LBB3_115
; %bb.112:
	s_mov_b32 s7, 0
	.p2align	6
.LBB3_113:                              ; =>This Inner Loop Header: Depth=1
	s_sleep 1
	s_clause 0x1
	global_load_dwordx2 v[1:2], v0, s[26:27] offset:40
	global_load_dwordx2 v[11:12], v0, s[26:27]
	v_mov_b32_e32 v10, v8
	v_mov_b32_e32 v9, v7
	s_waitcnt vmcnt(1)
	v_and_b32_e32 v1, v1, v9
	v_and_b32_e32 v2, v2, v10
	s_waitcnt vmcnt(0)
	v_mad_u64_u32 v[6:7], null, v1, 24, v[11:12]
	v_mov_b32_e32 v1, v7
	v_mad_u64_u32 v[1:2], null, v2, 24, v[1:2]
	v_mov_b32_e32 v7, v1
	global_load_dwordx2 v[7:8], v[6:7], off glc dlc
	s_waitcnt vmcnt(0)
	global_atomic_cmpswap_x2 v[7:8], v0, v[7:10], s[26:27] offset:24 glc
	s_waitcnt vmcnt(0)
	buffer_gl1_inv
	buffer_gl0_inv
	v_cmp_eq_u64_e32 vcc_lo, v[7:8], v[9:10]
	s_or_b32 s7, vcc_lo, s7
	s_andn2_b32 exec_lo, exec_lo, s7
	s_cbranch_execnz .LBB3_113
; %bb.114:
	s_or_b32 exec_lo, exec_lo, s7
.LBB3_115:
	s_or_b32 exec_lo, exec_lo, s6
.LBB3_116:
	s_or_b32 exec_lo, exec_lo, s5
	v_mov_b32_e32 v6, 0
	v_readfirstlane_b32 s6, v7
	v_readfirstlane_b32 s7, v8
	s_mov_b32 s5, exec_lo
	s_clause 0x1
	global_load_dwordx2 v[9:10], v6, s[26:27] offset:40
	global_load_dwordx4 v[0:3], v6, s[26:27]
	s_waitcnt vmcnt(1)
	v_readfirstlane_b32 s10, v9
	v_readfirstlane_b32 s11, v10
	s_and_b64 s[10:11], s[6:7], s[10:11]
	s_mul_i32 s16, s11, 24
	s_mul_hi_u32 s17, s10, 24
	s_mul_i32 s18, s10, 24
	s_add_i32 s17, s17, s16
	s_waitcnt vmcnt(0)
	v_add_co_u32 v8, vcc_lo, v0, s18
	v_add_co_ci_u32_e32 v9, vcc_lo, s17, v1, vcc_lo
	s_and_saveexec_b32 s16, s4
	s_cbranch_execz .LBB3_118
; %bb.117:
	v_mov_b32_e32 v10, s5
	v_mov_b32_e32 v11, v6
	v_mov_b32_e32 v12, 2
	v_mov_b32_e32 v13, 1
	global_store_dwordx4 v[8:9], v[10:13], off offset:8
.LBB3_118:
	s_or_b32 exec_lo, exec_lo, s16
	s_lshl_b64 s[10:11], s[10:11], 12
	s_mov_b32 s16, 0
	v_add_co_u32 v2, vcc_lo, v2, s10
	v_add_co_ci_u32_e32 v3, vcc_lo, s11, v3, vcc_lo
	s_mov_b32 s17, s16
	v_add_co_u32 v10, vcc_lo, v2, v38
	s_mov_b32 s18, s16
	s_mov_b32 s19, s16
	v_and_or_b32 v4, 0xffffff1f, v4, 32
	v_mov_b32_e32 v7, v6
	v_readfirstlane_b32 s10, v2
	v_readfirstlane_b32 s11, v3
	v_mov_b32_e32 v12, s16
	v_add_co_ci_u32_e32 v11, vcc_lo, 0, v3, vcc_lo
	v_mov_b32_e32 v13, s17
	v_mov_b32_e32 v14, s18
	;; [unrolled: 1-line block ×3, first 2 shown]
	global_store_dwordx4 v38, v[4:7], s[10:11]
	global_store_dwordx4 v38, v[12:15], s[10:11] offset:16
	global_store_dwordx4 v38, v[12:15], s[10:11] offset:32
	;; [unrolled: 1-line block ×3, first 2 shown]
	s_and_saveexec_b32 s5, s4
	s_cbranch_execz .LBB3_126
; %bb.119:
	v_mov_b32_e32 v6, 0
	v_mov_b32_e32 v12, s6
	;; [unrolled: 1-line block ×3, first 2 shown]
	s_clause 0x1
	global_load_dwordx2 v[14:15], v6, s[26:27] offset:32 glc dlc
	global_load_dwordx2 v[2:3], v6, s[26:27] offset:40
	s_waitcnt vmcnt(0)
	v_readfirstlane_b32 s10, v2
	v_readfirstlane_b32 s11, v3
	s_and_b64 s[10:11], s[10:11], s[6:7]
	s_mul_i32 s11, s11, 24
	s_mul_hi_u32 s16, s10, 24
	s_mul_i32 s10, s10, 24
	s_add_i32 s16, s16, s11
	v_add_co_u32 v4, vcc_lo, v0, s10
	v_add_co_ci_u32_e32 v5, vcc_lo, s16, v1, vcc_lo
	s_mov_b32 s10, exec_lo
	global_store_dwordx2 v[4:5], v[14:15], off
	s_waitcnt_vscnt null, 0x0
	global_atomic_cmpswap_x2 v[2:3], v6, v[12:15], s[26:27] offset:32 glc
	s_waitcnt vmcnt(0)
	v_cmpx_ne_u64_e64 v[2:3], v[14:15]
	s_cbranch_execz .LBB3_122
; %bb.120:
	s_mov_b32 s11, 0
.LBB3_121:                              ; =>This Inner Loop Header: Depth=1
	v_mov_b32_e32 v0, s6
	v_mov_b32_e32 v1, s7
	s_sleep 1
	global_store_dwordx2 v[4:5], v[2:3], off
	s_waitcnt_vscnt null, 0x0
	global_atomic_cmpswap_x2 v[0:1], v6, v[0:3], s[26:27] offset:32 glc
	s_waitcnt vmcnt(0)
	v_cmp_eq_u64_e32 vcc_lo, v[0:1], v[2:3]
	v_mov_b32_e32 v3, v1
	v_mov_b32_e32 v2, v0
	s_or_b32 s11, vcc_lo, s11
	s_andn2_b32 exec_lo, exec_lo, s11
	s_cbranch_execnz .LBB3_121
.LBB3_122:
	s_or_b32 exec_lo, exec_lo, s10
	v_mov_b32_e32 v3, 0
	s_mov_b32 s11, exec_lo
	s_mov_b32 s10, exec_lo
	v_mbcnt_lo_u32_b32 v2, s11, 0
	global_load_dwordx2 v[0:1], v3, s[26:27] offset:16
	v_cmpx_eq_u32_e32 0, v2
	s_cbranch_execz .LBB3_124
; %bb.123:
	s_bcnt1_i32_b32 s11, s11
	v_mov_b32_e32 v2, s11
	s_waitcnt vmcnt(0)
	global_atomic_add_x2 v[0:1], v[2:3], off offset:8
.LBB3_124:
	s_or_b32 exec_lo, exec_lo, s10
	s_waitcnt vmcnt(0)
	global_load_dwordx2 v[2:3], v[0:1], off offset:16
	s_waitcnt vmcnt(0)
	v_cmp_eq_u64_e32 vcc_lo, 0, v[2:3]
	s_cbranch_vccnz .LBB3_126
; %bb.125:
	global_load_dword v0, v[0:1], off offset:24
	v_mov_b32_e32 v1, 0
	s_waitcnt vmcnt(0)
	v_and_b32_e32 v4, 0x7fffff, v0
	s_waitcnt_vscnt null, 0x0
	global_store_dwordx2 v[2:3], v[0:1], off
	v_readfirstlane_b32 m0, v4
	s_sendmsg sendmsg(MSG_INTERRUPT)
.LBB3_126:
	s_or_b32 exec_lo, exec_lo, s5
	s_branch .LBB3_130
	.p2align	6
.LBB3_127:                              ;   in Loop: Header=BB3_130 Depth=1
	s_or_b32 exec_lo, exec_lo, s5
	v_readfirstlane_b32 s5, v0
	s_cmp_eq_u32 s5, 0
	s_cbranch_scc1 .LBB3_129
; %bb.128:                              ;   in Loop: Header=BB3_130 Depth=1
	s_sleep 1
	s_cbranch_execnz .LBB3_130
	s_branch .LBB3_132
	.p2align	6
.LBB3_129:
	s_branch .LBB3_132
.LBB3_130:                              ; =>This Inner Loop Header: Depth=1
	v_mov_b32_e32 v0, 1
	s_and_saveexec_b32 s5, s4
	s_cbranch_execz .LBB3_127
; %bb.131:                              ;   in Loop: Header=BB3_130 Depth=1
	global_load_dword v0, v[8:9], off offset:20 glc dlc
	s_waitcnt vmcnt(0)
	buffer_gl1_inv
	buffer_gl0_inv
	v_and_b32_e32 v0, 1, v0
	s_branch .LBB3_127
.LBB3_132:
	global_load_dwordx2 v[0:1], v[10:11], off
	s_and_saveexec_b32 s5, s4
	s_cbranch_execz .LBB3_136
; %bb.133:
	v_mov_b32_e32 v8, 0
	s_clause 0x2
	global_load_dwordx2 v[4:5], v8, s[26:27] offset:40
	global_load_dwordx2 v[9:10], v8, s[26:27] offset:24 glc dlc
	global_load_dwordx2 v[6:7], v8, s[26:27]
	s_waitcnt vmcnt(2)
	v_add_co_u32 v11, vcc_lo, v4, 1
	v_add_co_ci_u32_e32 v12, vcc_lo, 0, v5, vcc_lo
	v_add_co_u32 v2, vcc_lo, v11, s6
	v_add_co_ci_u32_e32 v3, vcc_lo, s7, v12, vcc_lo
	v_cmp_eq_u64_e32 vcc_lo, 0, v[2:3]
	v_cndmask_b32_e32 v3, v3, v12, vcc_lo
	v_cndmask_b32_e32 v2, v2, v11, vcc_lo
	v_and_b32_e32 v5, v3, v5
	v_and_b32_e32 v4, v2, v4
	v_mul_lo_u32 v5, v5, 24
	v_mul_hi_u32 v11, v4, 24
	v_mul_lo_u32 v4, v4, 24
	v_add_nc_u32_e32 v5, v11, v5
	s_waitcnt vmcnt(0)
	v_add_co_u32 v6, vcc_lo, v6, v4
	v_mov_b32_e32 v4, v9
	v_add_co_ci_u32_e32 v7, vcc_lo, v7, v5, vcc_lo
	v_mov_b32_e32 v5, v10
	global_store_dwordx2 v[6:7], v[9:10], off
	s_waitcnt_vscnt null, 0x0
	global_atomic_cmpswap_x2 v[4:5], v8, v[2:5], s[26:27] offset:24 glc
	s_waitcnt vmcnt(0)
	v_cmp_ne_u64_e32 vcc_lo, v[4:5], v[9:10]
	s_and_b32 exec_lo, exec_lo, vcc_lo
	s_cbranch_execz .LBB3_136
; %bb.134:
	s_mov_b32 s4, 0
.LBB3_135:                              ; =>This Inner Loop Header: Depth=1
	s_sleep 1
	global_store_dwordx2 v[6:7], v[4:5], off
	s_waitcnt_vscnt null, 0x0
	global_atomic_cmpswap_x2 v[9:10], v8, v[2:5], s[26:27] offset:24 glc
	s_waitcnt vmcnt(0)
	v_cmp_eq_u64_e32 vcc_lo, v[9:10], v[4:5]
	v_mov_b32_e32 v4, v9
	v_mov_b32_e32 v5, v10
	s_or_b32 s4, vcc_lo, s4
	s_andn2_b32 exec_lo, exec_lo, s4
	s_cbranch_execnz .LBB3_135
.LBB3_136:
	s_or_b32 exec_lo, exec_lo, s5
.LBB3_137:
	s_getpc_b64 s[6:7]
	s_add_u32 s6, s6, __PRETTY_FUNCTION__._ZL22equal_custom_predicateRN8migraphx4test12test_managerE@rel32@lo+4
	s_addc_u32 s7, s7, __PRETTY_FUNCTION__._ZL22equal_custom_predicateRN8migraphx4test12test_managerE@rel32@hi+12
	s_cmp_lg_u64 s[6:7], 0
	s_cbranch_scc0 .LBB3_216
; %bb.138:
	s_waitcnt vmcnt(0)
	v_and_b32_e32 v6, -3, v0
	v_mov_b32_e32 v7, v1
	v_mov_b32_e32 v3, 0
	;; [unrolled: 1-line block ×4, first 2 shown]
	s_mov_b64 s[10:11], 60
	s_branch .LBB3_140
.LBB3_139:                              ;   in Loop: Header=BB3_140 Depth=1
	s_or_b32 exec_lo, exec_lo, s5
	s_sub_u32 s10, s10, s16
	s_subb_u32 s11, s11, s17
	s_add_u32 s6, s6, s16
	s_addc_u32 s7, s7, s17
	s_cmp_lg_u64 s[10:11], 0
	s_cbranch_scc0 .LBB3_215
.LBB3_140:                              ; =>This Loop Header: Depth=1
                                        ;     Child Loop BB3_149 Depth 2
                                        ;     Child Loop BB3_145 Depth 2
	;; [unrolled: 1-line block ×11, first 2 shown]
	v_cmp_lt_u64_e64 s4, s[10:11], 56
	v_cmp_gt_u64_e64 s5, s[10:11], 7
                                        ; implicit-def: $sgpr23
	s_and_b32 s4, s4, exec_lo
	s_cselect_b32 s17, s11, 0
	s_cselect_b32 s16, s10, 56
	s_and_b32 vcc_lo, exec_lo, s5
	s_mov_b32 s4, -1
	s_cbranch_vccz .LBB3_147
; %bb.141:                              ;   in Loop: Header=BB3_140 Depth=1
	s_andn2_b32 vcc_lo, exec_lo, s4
	s_mov_b64 s[4:5], s[6:7]
	s_cbranch_vccz .LBB3_151
.LBB3_142:                              ;   in Loop: Header=BB3_140 Depth=1
	s_cmp_gt_u32 s23, 7
	s_cbranch_scc1 .LBB3_152
.LBB3_143:                              ;   in Loop: Header=BB3_140 Depth=1
	v_mov_b32_e32 v10, 0
	v_mov_b32_e32 v11, 0
	s_cmp_eq_u32 s23, 0
	s_cbranch_scc1 .LBB3_146
; %bb.144:                              ;   in Loop: Header=BB3_140 Depth=1
	s_mov_b64 s[18:19], 0
	s_mov_b64 s[20:21], 0
.LBB3_145:                              ;   Parent Loop BB3_140 Depth=1
                                        ; =>  This Inner Loop Header: Depth=2
	s_add_u32 s24, s4, s20
	s_addc_u32 s25, s5, s21
	s_add_u32 s20, s20, 1
	global_load_ubyte v2, v3, s[24:25]
	s_addc_u32 s21, s21, 0
	s_waitcnt vmcnt(0)
	v_and_b32_e32 v2, 0xffff, v2
	v_lshlrev_b64 v[12:13], s18, v[2:3]
	s_add_u32 s18, s18, 8
	s_addc_u32 s19, s19, 0
	s_cmp_lg_u32 s23, s20
	v_or_b32_e32 v10, v12, v10
	v_or_b32_e32 v11, v13, v11
	s_cbranch_scc1 .LBB3_145
.LBB3_146:                              ;   in Loop: Header=BB3_140 Depth=1
	s_mov_b32 s24, 0
	s_cbranch_execz .LBB3_153
	s_branch .LBB3_154
.LBB3_147:                              ;   in Loop: Header=BB3_140 Depth=1
	s_waitcnt vmcnt(0)
	v_mov_b32_e32 v8, 0
	v_mov_b32_e32 v9, 0
	s_cmp_eq_u64 s[10:11], 0
	s_mov_b64 s[4:5], 0
	s_cbranch_scc1 .LBB3_150
; %bb.148:                              ;   in Loop: Header=BB3_140 Depth=1
	v_mov_b32_e32 v8, 0
	v_mov_b32_e32 v9, 0
	s_lshl_b64 s[18:19], s[16:17], 3
	s_mov_b64 s[20:21], s[6:7]
.LBB3_149:                              ;   Parent Loop BB3_140 Depth=1
                                        ; =>  This Inner Loop Header: Depth=2
	global_load_ubyte v2, v3, s[20:21]
	s_waitcnt vmcnt(0)
	v_and_b32_e32 v2, 0xffff, v2
	v_lshlrev_b64 v[10:11], s4, v[2:3]
	s_add_u32 s4, s4, 8
	s_addc_u32 s5, s5, 0
	s_add_u32 s20, s20, 1
	s_addc_u32 s21, s21, 0
	s_cmp_lg_u32 s18, s4
	v_or_b32_e32 v8, v10, v8
	v_or_b32_e32 v9, v11, v9
	s_cbranch_scc1 .LBB3_149
.LBB3_150:                              ;   in Loop: Header=BB3_140 Depth=1
	s_mov_b32 s23, 0
	s_mov_b64 s[4:5], s[6:7]
	s_cbranch_execnz .LBB3_142
.LBB3_151:                              ;   in Loop: Header=BB3_140 Depth=1
	global_load_dwordx2 v[8:9], v3, s[6:7]
	s_add_i32 s23, s16, -8
	s_add_u32 s4, s6, 8
	s_addc_u32 s5, s7, 0
	s_cmp_gt_u32 s23, 7
	s_cbranch_scc0 .LBB3_143
.LBB3_152:                              ;   in Loop: Header=BB3_140 Depth=1
                                        ; implicit-def: $vgpr10_vgpr11
                                        ; implicit-def: $sgpr24
.LBB3_153:                              ;   in Loop: Header=BB3_140 Depth=1
	global_load_dwordx2 v[10:11], v3, s[4:5]
	s_add_i32 s24, s23, -8
	s_add_u32 s4, s4, 8
	s_addc_u32 s5, s5, 0
.LBB3_154:                              ;   in Loop: Header=BB3_140 Depth=1
	s_cmp_gt_u32 s24, 7
	s_cbranch_scc1 .LBB3_159
; %bb.155:                              ;   in Loop: Header=BB3_140 Depth=1
	v_mov_b32_e32 v12, 0
	v_mov_b32_e32 v13, 0
	s_cmp_eq_u32 s24, 0
	s_cbranch_scc1 .LBB3_158
; %bb.156:                              ;   in Loop: Header=BB3_140 Depth=1
	s_mov_b64 s[18:19], 0
	s_mov_b64 s[20:21], 0
.LBB3_157:                              ;   Parent Loop BB3_140 Depth=1
                                        ; =>  This Inner Loop Header: Depth=2
	s_add_u32 vcc_lo, s4, s20
	s_addc_u32 vcc_hi, s5, s21
	s_add_u32 s20, s20, 1
	global_load_ubyte v2, v3, vcc
	s_addc_u32 s21, s21, 0
	s_waitcnt vmcnt(0)
	v_and_b32_e32 v2, 0xffff, v2
	v_lshlrev_b64 v[14:15], s18, v[2:3]
	s_add_u32 s18, s18, 8
	s_addc_u32 s19, s19, 0
	s_cmp_lg_u32 s24, s20
	v_or_b32_e32 v12, v14, v12
	v_or_b32_e32 v13, v15, v13
	s_cbranch_scc1 .LBB3_157
.LBB3_158:                              ;   in Loop: Header=BB3_140 Depth=1
	s_mov_b32 s23, 0
	s_cbranch_execz .LBB3_160
	s_branch .LBB3_161
.LBB3_159:                              ;   in Loop: Header=BB3_140 Depth=1
                                        ; implicit-def: $sgpr23
.LBB3_160:                              ;   in Loop: Header=BB3_140 Depth=1
	global_load_dwordx2 v[12:13], v3, s[4:5]
	s_add_i32 s23, s24, -8
	s_add_u32 s4, s4, 8
	s_addc_u32 s5, s5, 0
.LBB3_161:                              ;   in Loop: Header=BB3_140 Depth=1
	s_cmp_gt_u32 s23, 7
	s_cbranch_scc1 .LBB3_166
; %bb.162:                              ;   in Loop: Header=BB3_140 Depth=1
	v_mov_b32_e32 v14, 0
	v_mov_b32_e32 v15, 0
	s_cmp_eq_u32 s23, 0
	s_cbranch_scc1 .LBB3_165
; %bb.163:                              ;   in Loop: Header=BB3_140 Depth=1
	s_mov_b64 s[18:19], 0
	s_mov_b64 s[20:21], 0
.LBB3_164:                              ;   Parent Loop BB3_140 Depth=1
                                        ; =>  This Inner Loop Header: Depth=2
	s_add_u32 s24, s4, s20
	s_addc_u32 s25, s5, s21
	s_add_u32 s20, s20, 1
	global_load_ubyte v2, v3, s[24:25]
	s_addc_u32 s21, s21, 0
	s_waitcnt vmcnt(0)
	v_and_b32_e32 v2, 0xffff, v2
	v_lshlrev_b64 v[16:17], s18, v[2:3]
	s_add_u32 s18, s18, 8
	s_addc_u32 s19, s19, 0
	s_cmp_lg_u32 s23, s20
	v_or_b32_e32 v14, v16, v14
	v_or_b32_e32 v15, v17, v15
	s_cbranch_scc1 .LBB3_164
.LBB3_165:                              ;   in Loop: Header=BB3_140 Depth=1
	s_mov_b32 s24, 0
	s_cbranch_execz .LBB3_167
	s_branch .LBB3_168
.LBB3_166:                              ;   in Loop: Header=BB3_140 Depth=1
                                        ; implicit-def: $vgpr14_vgpr15
                                        ; implicit-def: $sgpr24
.LBB3_167:                              ;   in Loop: Header=BB3_140 Depth=1
	global_load_dwordx2 v[14:15], v3, s[4:5]
	s_add_i32 s24, s23, -8
	s_add_u32 s4, s4, 8
	s_addc_u32 s5, s5, 0
.LBB3_168:                              ;   in Loop: Header=BB3_140 Depth=1
	s_cmp_gt_u32 s24, 7
	s_cbranch_scc1 .LBB3_173
; %bb.169:                              ;   in Loop: Header=BB3_140 Depth=1
	v_mov_b32_e32 v16, 0
	v_mov_b32_e32 v17, 0
	s_cmp_eq_u32 s24, 0
	s_cbranch_scc1 .LBB3_172
; %bb.170:                              ;   in Loop: Header=BB3_140 Depth=1
	s_mov_b64 s[18:19], 0
	s_mov_b64 s[20:21], 0
.LBB3_171:                              ;   Parent Loop BB3_140 Depth=1
                                        ; =>  This Inner Loop Header: Depth=2
	s_add_u32 vcc_lo, s4, s20
	s_addc_u32 vcc_hi, s5, s21
	s_add_u32 s20, s20, 1
	global_load_ubyte v2, v3, vcc
	s_addc_u32 s21, s21, 0
	s_waitcnt vmcnt(0)
	v_and_b32_e32 v2, 0xffff, v2
	v_lshlrev_b64 v[18:19], s18, v[2:3]
	s_add_u32 s18, s18, 8
	s_addc_u32 s19, s19, 0
	s_cmp_lg_u32 s24, s20
	v_or_b32_e32 v16, v18, v16
	v_or_b32_e32 v17, v19, v17
	s_cbranch_scc1 .LBB3_171
.LBB3_172:                              ;   in Loop: Header=BB3_140 Depth=1
	s_mov_b32 s23, 0
	s_cbranch_execz .LBB3_174
	s_branch .LBB3_175
.LBB3_173:                              ;   in Loop: Header=BB3_140 Depth=1
                                        ; implicit-def: $sgpr23
.LBB3_174:                              ;   in Loop: Header=BB3_140 Depth=1
	global_load_dwordx2 v[16:17], v3, s[4:5]
	s_add_i32 s23, s24, -8
	s_add_u32 s4, s4, 8
	s_addc_u32 s5, s5, 0
.LBB3_175:                              ;   in Loop: Header=BB3_140 Depth=1
	s_cmp_gt_u32 s23, 7
	s_cbranch_scc1 .LBB3_180
; %bb.176:                              ;   in Loop: Header=BB3_140 Depth=1
	v_mov_b32_e32 v18, 0
	v_mov_b32_e32 v19, 0
	s_cmp_eq_u32 s23, 0
	s_cbranch_scc1 .LBB3_179
; %bb.177:                              ;   in Loop: Header=BB3_140 Depth=1
	s_mov_b64 s[18:19], 0
	s_mov_b64 s[20:21], 0
.LBB3_178:                              ;   Parent Loop BB3_140 Depth=1
                                        ; =>  This Inner Loop Header: Depth=2
	s_add_u32 s24, s4, s20
	s_addc_u32 s25, s5, s21
	s_add_u32 s20, s20, 1
	global_load_ubyte v2, v3, s[24:25]
	s_addc_u32 s21, s21, 0
	s_waitcnt vmcnt(0)
	v_and_b32_e32 v2, 0xffff, v2
	v_lshlrev_b64 v[20:21], s18, v[2:3]
	s_add_u32 s18, s18, 8
	s_addc_u32 s19, s19, 0
	s_cmp_lg_u32 s23, s20
	v_or_b32_e32 v18, v20, v18
	v_or_b32_e32 v19, v21, v19
	s_cbranch_scc1 .LBB3_178
.LBB3_179:                              ;   in Loop: Header=BB3_140 Depth=1
	s_mov_b32 s24, 0
	s_cbranch_execz .LBB3_181
	s_branch .LBB3_182
.LBB3_180:                              ;   in Loop: Header=BB3_140 Depth=1
                                        ; implicit-def: $vgpr18_vgpr19
                                        ; implicit-def: $sgpr24
.LBB3_181:                              ;   in Loop: Header=BB3_140 Depth=1
	global_load_dwordx2 v[18:19], v3, s[4:5]
	s_add_i32 s24, s23, -8
	s_add_u32 s4, s4, 8
	s_addc_u32 s5, s5, 0
.LBB3_182:                              ;   in Loop: Header=BB3_140 Depth=1
	s_cmp_gt_u32 s24, 7
	s_cbranch_scc1 .LBB3_187
; %bb.183:                              ;   in Loop: Header=BB3_140 Depth=1
	v_mov_b32_e32 v20, 0
	v_mov_b32_e32 v21, 0
	s_cmp_eq_u32 s24, 0
	s_cbranch_scc1 .LBB3_186
; %bb.184:                              ;   in Loop: Header=BB3_140 Depth=1
	s_mov_b64 s[18:19], 0
	s_mov_b64 s[20:21], s[4:5]
.LBB3_185:                              ;   Parent Loop BB3_140 Depth=1
                                        ; =>  This Inner Loop Header: Depth=2
	global_load_ubyte v2, v3, s[20:21]
	s_add_i32 s24, s24, -1
	s_waitcnt vmcnt(0)
	v_and_b32_e32 v2, 0xffff, v2
	v_lshlrev_b64 v[22:23], s18, v[2:3]
	s_add_u32 s18, s18, 8
	s_addc_u32 s19, s19, 0
	s_add_u32 s20, s20, 1
	s_addc_u32 s21, s21, 0
	s_cmp_lg_u32 s24, 0
	v_or_b32_e32 v20, v22, v20
	v_or_b32_e32 v21, v23, v21
	s_cbranch_scc1 .LBB3_185
.LBB3_186:                              ;   in Loop: Header=BB3_140 Depth=1
	s_cbranch_execz .LBB3_188
	s_branch .LBB3_189
.LBB3_187:                              ;   in Loop: Header=BB3_140 Depth=1
.LBB3_188:                              ;   in Loop: Header=BB3_140 Depth=1
	global_load_dwordx2 v[20:21], v3, s[4:5]
.LBB3_189:                              ;   in Loop: Header=BB3_140 Depth=1
	v_readfirstlane_b32 s4, v39
	v_mov_b32_e32 v26, 0
	v_mov_b32_e32 v27, 0
	v_cmp_eq_u32_e64 s4, s4, v39
	s_and_saveexec_b32 s5, s4
	s_cbranch_execz .LBB3_195
; %bb.190:                              ;   in Loop: Header=BB3_140 Depth=1
	global_load_dwordx2 v[24:25], v3, s[26:27] offset:24 glc dlc
	s_waitcnt vmcnt(0)
	buffer_gl1_inv
	buffer_gl0_inv
	s_clause 0x1
	global_load_dwordx2 v[22:23], v3, s[26:27] offset:40
	global_load_dwordx2 v[26:27], v3, s[26:27]
	s_mov_b32 s18, exec_lo
	s_waitcnt vmcnt(1)
	v_and_b32_e32 v2, v23, v25
	v_and_b32_e32 v22, v22, v24
	v_mul_lo_u32 v2, v2, 24
	v_mul_hi_u32 v23, v22, 24
	v_mul_lo_u32 v22, v22, 24
	v_add_nc_u32_e32 v2, v23, v2
	s_waitcnt vmcnt(0)
	v_add_co_u32 v22, vcc_lo, v26, v22
	v_add_co_ci_u32_e32 v23, vcc_lo, v27, v2, vcc_lo
	global_load_dwordx2 v[22:23], v[22:23], off glc dlc
	s_waitcnt vmcnt(0)
	global_atomic_cmpswap_x2 v[26:27], v3, v[22:25], s[26:27] offset:24 glc
	s_waitcnt vmcnt(0)
	buffer_gl1_inv
	buffer_gl0_inv
	v_cmpx_ne_u64_e64 v[26:27], v[24:25]
	s_cbranch_execz .LBB3_194
; %bb.191:                              ;   in Loop: Header=BB3_140 Depth=1
	s_mov_b32 s19, 0
	.p2align	6
.LBB3_192:                              ;   Parent Loop BB3_140 Depth=1
                                        ; =>  This Inner Loop Header: Depth=2
	s_sleep 1
	s_clause 0x1
	global_load_dwordx2 v[22:23], v3, s[26:27] offset:40
	global_load_dwordx2 v[28:29], v3, s[26:27]
	v_mov_b32_e32 v24, v26
	v_mov_b32_e32 v25, v27
	s_waitcnt vmcnt(1)
	v_and_b32_e32 v2, v22, v24
	v_and_b32_e32 v22, v23, v25
	s_waitcnt vmcnt(0)
	v_mad_u64_u32 v[26:27], null, v2, 24, v[28:29]
	v_mov_b32_e32 v2, v27
	v_mad_u64_u32 v[22:23], null, v22, 24, v[2:3]
	v_mov_b32_e32 v27, v22
	global_load_dwordx2 v[22:23], v[26:27], off glc dlc
	s_waitcnt vmcnt(0)
	global_atomic_cmpswap_x2 v[26:27], v3, v[22:25], s[26:27] offset:24 glc
	s_waitcnt vmcnt(0)
	buffer_gl1_inv
	buffer_gl0_inv
	v_cmp_eq_u64_e32 vcc_lo, v[26:27], v[24:25]
	s_or_b32 s19, vcc_lo, s19
	s_andn2_b32 exec_lo, exec_lo, s19
	s_cbranch_execnz .LBB3_192
; %bb.193:                              ;   in Loop: Header=BB3_140 Depth=1
	s_or_b32 exec_lo, exec_lo, s19
.LBB3_194:                              ;   in Loop: Header=BB3_140 Depth=1
	s_or_b32 exec_lo, exec_lo, s18
.LBB3_195:                              ;   in Loop: Header=BB3_140 Depth=1
	s_or_b32 exec_lo, exec_lo, s5
	s_clause 0x1
	global_load_dwordx2 v[28:29], v3, s[26:27] offset:40
	global_load_dwordx4 v[22:25], v3, s[26:27]
	v_readfirstlane_b32 s18, v26
	v_readfirstlane_b32 s19, v27
	s_mov_b32 s5, exec_lo
	s_waitcnt vmcnt(1)
	v_readfirstlane_b32 s20, v28
	v_readfirstlane_b32 s21, v29
	s_and_b64 s[20:21], s[18:19], s[20:21]
	s_mul_i32 s23, s21, 24
	s_mul_hi_u32 s24, s20, 24
	s_mul_i32 s25, s20, 24
	s_add_i32 s24, s24, s23
	s_waitcnt vmcnt(0)
	v_add_co_u32 v26, vcc_lo, v22, s25
	v_add_co_ci_u32_e32 v27, vcc_lo, s24, v23, vcc_lo
	s_and_saveexec_b32 s23, s4
	s_cbranch_execz .LBB3_197
; %bb.196:                              ;   in Loop: Header=BB3_140 Depth=1
	v_mov_b32_e32 v2, s5
	global_store_dwordx4 v[26:27], v[2:5], off offset:8
.LBB3_197:                              ;   in Loop: Header=BB3_140 Depth=1
	s_or_b32 exec_lo, exec_lo, s23
	s_lshl_b64 s[20:21], s[20:21], 12
	v_or_b32_e32 v2, 2, v6
	v_add_co_u32 v24, vcc_lo, v24, s20
	v_add_co_ci_u32_e32 v25, vcc_lo, s21, v25, vcc_lo
	v_cmp_gt_u64_e64 vcc_lo, s[10:11], 56
	s_lshl_b32 s5, s16, 2
	v_readfirstlane_b32 s20, v24
	s_add_i32 s5, s5, 28
	v_readfirstlane_b32 s21, v25
	s_and_b32 s5, s5, 0x1e0
	v_cndmask_b32_e32 v2, v2, v6, vcc_lo
	v_and_or_b32 v6, 0xffffff1f, v2, s5
	global_store_dwordx4 v38, v[10:13], s[20:21] offset:16
	global_store_dwordx4 v38, v[6:9], s[20:21]
	global_store_dwordx4 v38, v[14:17], s[20:21] offset:32
	global_store_dwordx4 v38, v[18:21], s[20:21] offset:48
	s_and_saveexec_b32 s5, s4
	s_cbranch_execz .LBB3_205
; %bb.198:                              ;   in Loop: Header=BB3_140 Depth=1
	s_clause 0x1
	global_load_dwordx2 v[14:15], v3, s[26:27] offset:32 glc dlc
	global_load_dwordx2 v[6:7], v3, s[26:27] offset:40
	v_mov_b32_e32 v12, s18
	v_mov_b32_e32 v13, s19
	s_waitcnt vmcnt(0)
	v_readfirstlane_b32 s20, v6
	v_readfirstlane_b32 s21, v7
	s_and_b64 s[20:21], s[20:21], s[18:19]
	s_mul_i32 s21, s21, 24
	s_mul_hi_u32 s23, s20, 24
	s_mul_i32 s20, s20, 24
	s_add_i32 s23, s23, s21
	v_add_co_u32 v10, vcc_lo, v22, s20
	v_add_co_ci_u32_e32 v11, vcc_lo, s23, v23, vcc_lo
	s_mov_b32 s20, exec_lo
	global_store_dwordx2 v[10:11], v[14:15], off
	s_waitcnt_vscnt null, 0x0
	global_atomic_cmpswap_x2 v[8:9], v3, v[12:15], s[26:27] offset:32 glc
	s_waitcnt vmcnt(0)
	v_cmpx_ne_u64_e64 v[8:9], v[14:15]
	s_cbranch_execz .LBB3_201
; %bb.199:                              ;   in Loop: Header=BB3_140 Depth=1
	s_mov_b32 s21, 0
.LBB3_200:                              ;   Parent Loop BB3_140 Depth=1
                                        ; =>  This Inner Loop Header: Depth=2
	v_mov_b32_e32 v6, s18
	v_mov_b32_e32 v7, s19
	s_sleep 1
	global_store_dwordx2 v[10:11], v[8:9], off
	s_waitcnt_vscnt null, 0x0
	global_atomic_cmpswap_x2 v[6:7], v3, v[6:9], s[26:27] offset:32 glc
	s_waitcnt vmcnt(0)
	v_cmp_eq_u64_e32 vcc_lo, v[6:7], v[8:9]
	v_mov_b32_e32 v9, v7
	v_mov_b32_e32 v8, v6
	s_or_b32 s21, vcc_lo, s21
	s_andn2_b32 exec_lo, exec_lo, s21
	s_cbranch_execnz .LBB3_200
.LBB3_201:                              ;   in Loop: Header=BB3_140 Depth=1
	s_or_b32 exec_lo, exec_lo, s20
	global_load_dwordx2 v[6:7], v3, s[26:27] offset:16
	s_mov_b32 s21, exec_lo
	s_mov_b32 s20, exec_lo
	v_mbcnt_lo_u32_b32 v2, s21, 0
	v_cmpx_eq_u32_e32 0, v2
	s_cbranch_execz .LBB3_203
; %bb.202:                              ;   in Loop: Header=BB3_140 Depth=1
	s_bcnt1_i32_b32 s21, s21
	v_mov_b32_e32 v2, s21
	s_waitcnt vmcnt(0)
	global_atomic_add_x2 v[6:7], v[2:3], off offset:8
.LBB3_203:                              ;   in Loop: Header=BB3_140 Depth=1
	s_or_b32 exec_lo, exec_lo, s20
	s_waitcnt vmcnt(0)
	global_load_dwordx2 v[8:9], v[6:7], off offset:16
	s_waitcnt vmcnt(0)
	v_cmp_eq_u64_e32 vcc_lo, 0, v[8:9]
	s_cbranch_vccnz .LBB3_205
; %bb.204:                              ;   in Loop: Header=BB3_140 Depth=1
	global_load_dword v2, v[6:7], off offset:24
	s_waitcnt vmcnt(0)
	v_and_b32_e32 v6, 0x7fffff, v2
	s_waitcnt_vscnt null, 0x0
	global_store_dwordx2 v[8:9], v[2:3], off
	v_readfirstlane_b32 m0, v6
	s_sendmsg sendmsg(MSG_INTERRUPT)
.LBB3_205:                              ;   in Loop: Header=BB3_140 Depth=1
	s_or_b32 exec_lo, exec_lo, s5
	v_add_co_u32 v6, vcc_lo, v24, v38
	v_add_co_ci_u32_e32 v7, vcc_lo, 0, v25, vcc_lo
	s_branch .LBB3_209
	.p2align	6
.LBB3_206:                              ;   in Loop: Header=BB3_209 Depth=2
	s_or_b32 exec_lo, exec_lo, s5
	v_readfirstlane_b32 s5, v2
	s_cmp_eq_u32 s5, 0
	s_cbranch_scc1 .LBB3_208
; %bb.207:                              ;   in Loop: Header=BB3_209 Depth=2
	s_sleep 1
	s_cbranch_execnz .LBB3_209
	s_branch .LBB3_211
	.p2align	6
.LBB3_208:                              ;   in Loop: Header=BB3_140 Depth=1
	s_branch .LBB3_211
.LBB3_209:                              ;   Parent Loop BB3_140 Depth=1
                                        ; =>  This Inner Loop Header: Depth=2
	v_mov_b32_e32 v2, 1
	s_and_saveexec_b32 s5, s4
	s_cbranch_execz .LBB3_206
; %bb.210:                              ;   in Loop: Header=BB3_209 Depth=2
	global_load_dword v2, v[26:27], off offset:20 glc dlc
	s_waitcnt vmcnt(0)
	buffer_gl1_inv
	buffer_gl0_inv
	v_and_b32_e32 v2, 1, v2
	s_branch .LBB3_206
.LBB3_211:                              ;   in Loop: Header=BB3_140 Depth=1
	global_load_dwordx4 v[6:9], v[6:7], off
	s_and_saveexec_b32 s5, s4
	s_cbranch_execz .LBB3_139
; %bb.212:                              ;   in Loop: Header=BB3_140 Depth=1
	s_clause 0x2
	global_load_dwordx2 v[10:11], v3, s[26:27] offset:40
	global_load_dwordx2 v[14:15], v3, s[26:27] offset:24 glc dlc
	global_load_dwordx2 v[12:13], v3, s[26:27]
	s_waitcnt vmcnt(2)
	v_add_co_u32 v2, vcc_lo, v10, 1
	v_add_co_ci_u32_e32 v16, vcc_lo, 0, v11, vcc_lo
	v_add_co_u32 v8, vcc_lo, v2, s18
	v_add_co_ci_u32_e32 v9, vcc_lo, s19, v16, vcc_lo
	v_cmp_eq_u64_e32 vcc_lo, 0, v[8:9]
	v_cndmask_b32_e32 v9, v9, v16, vcc_lo
	v_cndmask_b32_e32 v8, v8, v2, vcc_lo
	v_and_b32_e32 v2, v9, v11
	v_and_b32_e32 v10, v8, v10
	v_mul_lo_u32 v2, v2, 24
	v_mul_hi_u32 v11, v10, 24
	v_mul_lo_u32 v10, v10, 24
	v_add_nc_u32_e32 v2, v11, v2
	s_waitcnt vmcnt(0)
	v_add_co_u32 v12, vcc_lo, v12, v10
	v_mov_b32_e32 v10, v14
	v_mov_b32_e32 v11, v15
	v_add_co_ci_u32_e32 v13, vcc_lo, v13, v2, vcc_lo
	global_store_dwordx2 v[12:13], v[14:15], off
	s_waitcnt_vscnt null, 0x0
	global_atomic_cmpswap_x2 v[10:11], v3, v[8:11], s[26:27] offset:24 glc
	s_waitcnt vmcnt(0)
	v_cmp_ne_u64_e32 vcc_lo, v[10:11], v[14:15]
	s_and_b32 exec_lo, exec_lo, vcc_lo
	s_cbranch_execz .LBB3_139
; %bb.213:                              ;   in Loop: Header=BB3_140 Depth=1
	s_mov_b32 s4, 0
.LBB3_214:                              ;   Parent Loop BB3_140 Depth=1
                                        ; =>  This Inner Loop Header: Depth=2
	s_sleep 1
	global_store_dwordx2 v[12:13], v[10:11], off
	s_waitcnt_vscnt null, 0x0
	global_atomic_cmpswap_x2 v[14:15], v3, v[8:11], s[26:27] offset:24 glc
	s_waitcnt vmcnt(0)
	v_cmp_eq_u64_e32 vcc_lo, v[14:15], v[10:11]
	v_mov_b32_e32 v10, v14
	v_mov_b32_e32 v11, v15
	s_or_b32 s4, vcc_lo, s4
	s_andn2_b32 exec_lo, exec_lo, s4
	s_cbranch_execnz .LBB3_214
	s_branch .LBB3_139
.LBB3_215:
	s_branch .LBB3_244
.LBB3_216:
	s_cbranch_execz .LBB3_244
; %bb.217:
	v_readfirstlane_b32 s4, v39
	s_waitcnt vmcnt(0)
	v_mov_b32_e32 v8, 0
	v_mov_b32_e32 v9, 0
	v_cmp_eq_u32_e64 s4, s4, v39
	s_and_saveexec_b32 s5, s4
	s_cbranch_execz .LBB3_223
; %bb.218:
	v_mov_b32_e32 v2, 0
	s_mov_b32 s6, exec_lo
	global_load_dwordx2 v[5:6], v2, s[26:27] offset:24 glc dlc
	s_waitcnt vmcnt(0)
	buffer_gl1_inv
	buffer_gl0_inv
	s_clause 0x1
	global_load_dwordx2 v[3:4], v2, s[26:27] offset:40
	global_load_dwordx2 v[7:8], v2, s[26:27]
	s_waitcnt vmcnt(1)
	v_and_b32_e32 v4, v4, v6
	v_and_b32_e32 v3, v3, v5
	v_mul_lo_u32 v4, v4, 24
	v_mul_hi_u32 v9, v3, 24
	v_mul_lo_u32 v3, v3, 24
	v_add_nc_u32_e32 v4, v9, v4
	s_waitcnt vmcnt(0)
	v_add_co_u32 v3, vcc_lo, v7, v3
	v_add_co_ci_u32_e32 v4, vcc_lo, v8, v4, vcc_lo
	global_load_dwordx2 v[3:4], v[3:4], off glc dlc
	s_waitcnt vmcnt(0)
	global_atomic_cmpswap_x2 v[8:9], v2, v[3:6], s[26:27] offset:24 glc
	s_waitcnt vmcnt(0)
	buffer_gl1_inv
	buffer_gl0_inv
	v_cmpx_ne_u64_e64 v[8:9], v[5:6]
	s_cbranch_execz .LBB3_222
; %bb.219:
	s_mov_b32 s7, 0
	.p2align	6
.LBB3_220:                              ; =>This Inner Loop Header: Depth=1
	s_sleep 1
	s_clause 0x1
	global_load_dwordx2 v[3:4], v2, s[26:27] offset:40
	global_load_dwordx2 v[10:11], v2, s[26:27]
	v_mov_b32_e32 v5, v8
	v_mov_b32_e32 v6, v9
	s_waitcnt vmcnt(1)
	v_and_b32_e32 v3, v3, v5
	v_and_b32_e32 v4, v4, v6
	s_waitcnt vmcnt(0)
	v_mad_u64_u32 v[7:8], null, v3, 24, v[10:11]
	v_mov_b32_e32 v3, v8
	v_mad_u64_u32 v[3:4], null, v4, 24, v[3:4]
	v_mov_b32_e32 v8, v3
	global_load_dwordx2 v[3:4], v[7:8], off glc dlc
	s_waitcnt vmcnt(0)
	global_atomic_cmpswap_x2 v[8:9], v2, v[3:6], s[26:27] offset:24 glc
	s_waitcnt vmcnt(0)
	buffer_gl1_inv
	buffer_gl0_inv
	v_cmp_eq_u64_e32 vcc_lo, v[8:9], v[5:6]
	s_or_b32 s7, vcc_lo, s7
	s_andn2_b32 exec_lo, exec_lo, s7
	s_cbranch_execnz .LBB3_220
; %bb.221:
	s_or_b32 exec_lo, exec_lo, s7
.LBB3_222:
	s_or_b32 exec_lo, exec_lo, s6
.LBB3_223:
	s_or_b32 exec_lo, exec_lo, s5
	v_mov_b32_e32 v2, 0
	v_readfirstlane_b32 s6, v8
	v_readfirstlane_b32 s7, v9
	s_mov_b32 s5, exec_lo
	s_clause 0x1
	global_load_dwordx2 v[10:11], v2, s[26:27] offset:40
	global_load_dwordx4 v[4:7], v2, s[26:27]
	s_waitcnt vmcnt(1)
	v_readfirstlane_b32 s10, v10
	v_readfirstlane_b32 s11, v11
	s_and_b64 s[10:11], s[6:7], s[10:11]
	s_mul_i32 s16, s11, 24
	s_mul_hi_u32 s17, s10, 24
	s_mul_i32 s18, s10, 24
	s_add_i32 s17, s17, s16
	s_waitcnt vmcnt(0)
	v_add_co_u32 v8, vcc_lo, v4, s18
	v_add_co_ci_u32_e32 v9, vcc_lo, s17, v5, vcc_lo
	s_and_saveexec_b32 s16, s4
	s_cbranch_execz .LBB3_225
; %bb.224:
	v_mov_b32_e32 v10, s5
	v_mov_b32_e32 v11, v2
	;; [unrolled: 1-line block ×4, first 2 shown]
	global_store_dwordx4 v[8:9], v[10:13], off offset:8
.LBB3_225:
	s_or_b32 exec_lo, exec_lo, s16
	s_lshl_b64 s[10:11], s[10:11], 12
	s_mov_b32 s16, 0
	v_add_co_u32 v6, vcc_lo, v6, s10
	v_add_co_ci_u32_e32 v7, vcc_lo, s11, v7, vcc_lo
	s_mov_b32 s17, s16
	s_mov_b32 s18, s16
	;; [unrolled: 1-line block ×3, first 2 shown]
	v_and_or_b32 v0, 0xffffff1d, v0, 34
	v_mov_b32_e32 v3, v2
	v_readfirstlane_b32 s10, v6
	v_readfirstlane_b32 s11, v7
	v_mov_b32_e32 v10, s16
	v_mov_b32_e32 v11, s17
	;; [unrolled: 1-line block ×4, first 2 shown]
	global_store_dwordx4 v38, v[0:3], s[10:11]
	global_store_dwordx4 v38, v[10:13], s[10:11] offset:16
	global_store_dwordx4 v38, v[10:13], s[10:11] offset:32
	;; [unrolled: 1-line block ×3, first 2 shown]
	s_and_saveexec_b32 s5, s4
	s_cbranch_execz .LBB3_233
; %bb.226:
	v_mov_b32_e32 v6, 0
	v_mov_b32_e32 v10, s6
	;; [unrolled: 1-line block ×3, first 2 shown]
	s_clause 0x1
	global_load_dwordx2 v[12:13], v6, s[26:27] offset:32 glc dlc
	global_load_dwordx2 v[0:1], v6, s[26:27] offset:40
	s_waitcnt vmcnt(0)
	v_readfirstlane_b32 s10, v0
	v_readfirstlane_b32 s11, v1
	s_and_b64 s[10:11], s[10:11], s[6:7]
	s_mul_i32 s11, s11, 24
	s_mul_hi_u32 s16, s10, 24
	s_mul_i32 s10, s10, 24
	s_add_i32 s16, s16, s11
	v_add_co_u32 v4, vcc_lo, v4, s10
	v_add_co_ci_u32_e32 v5, vcc_lo, s16, v5, vcc_lo
	s_mov_b32 s10, exec_lo
	global_store_dwordx2 v[4:5], v[12:13], off
	s_waitcnt_vscnt null, 0x0
	global_atomic_cmpswap_x2 v[2:3], v6, v[10:13], s[26:27] offset:32 glc
	s_waitcnt vmcnt(0)
	v_cmpx_ne_u64_e64 v[2:3], v[12:13]
	s_cbranch_execz .LBB3_229
; %bb.227:
	s_mov_b32 s11, 0
.LBB3_228:                              ; =>This Inner Loop Header: Depth=1
	v_mov_b32_e32 v0, s6
	v_mov_b32_e32 v1, s7
	s_sleep 1
	global_store_dwordx2 v[4:5], v[2:3], off
	s_waitcnt_vscnt null, 0x0
	global_atomic_cmpswap_x2 v[0:1], v6, v[0:3], s[26:27] offset:32 glc
	s_waitcnt vmcnt(0)
	v_cmp_eq_u64_e32 vcc_lo, v[0:1], v[2:3]
	v_mov_b32_e32 v3, v1
	v_mov_b32_e32 v2, v0
	s_or_b32 s11, vcc_lo, s11
	s_andn2_b32 exec_lo, exec_lo, s11
	s_cbranch_execnz .LBB3_228
.LBB3_229:
	s_or_b32 exec_lo, exec_lo, s10
	v_mov_b32_e32 v3, 0
	s_mov_b32 s11, exec_lo
	s_mov_b32 s10, exec_lo
	v_mbcnt_lo_u32_b32 v2, s11, 0
	global_load_dwordx2 v[0:1], v3, s[26:27] offset:16
	v_cmpx_eq_u32_e32 0, v2
	s_cbranch_execz .LBB3_231
; %bb.230:
	s_bcnt1_i32_b32 s11, s11
	v_mov_b32_e32 v2, s11
	s_waitcnt vmcnt(0)
	global_atomic_add_x2 v[0:1], v[2:3], off offset:8
.LBB3_231:
	s_or_b32 exec_lo, exec_lo, s10
	s_waitcnt vmcnt(0)
	global_load_dwordx2 v[2:3], v[0:1], off offset:16
	s_waitcnt vmcnt(0)
	v_cmp_eq_u64_e32 vcc_lo, 0, v[2:3]
	s_cbranch_vccnz .LBB3_233
; %bb.232:
	global_load_dword v0, v[0:1], off offset:24
	v_mov_b32_e32 v1, 0
	s_waitcnt vmcnt(0)
	v_and_b32_e32 v4, 0x7fffff, v0
	s_waitcnt_vscnt null, 0x0
	global_store_dwordx2 v[2:3], v[0:1], off
	v_readfirstlane_b32 m0, v4
	s_sendmsg sendmsg(MSG_INTERRUPT)
.LBB3_233:
	s_or_b32 exec_lo, exec_lo, s5
	s_branch .LBB3_237
	.p2align	6
.LBB3_234:                              ;   in Loop: Header=BB3_237 Depth=1
	s_or_b32 exec_lo, exec_lo, s5
	v_readfirstlane_b32 s5, v0
	s_cmp_eq_u32 s5, 0
	s_cbranch_scc1 .LBB3_236
; %bb.235:                              ;   in Loop: Header=BB3_237 Depth=1
	s_sleep 1
	s_cbranch_execnz .LBB3_237
	s_branch .LBB3_239
	.p2align	6
.LBB3_236:
	s_branch .LBB3_239
.LBB3_237:                              ; =>This Inner Loop Header: Depth=1
	v_mov_b32_e32 v0, 1
	s_and_saveexec_b32 s5, s4
	s_cbranch_execz .LBB3_234
; %bb.238:                              ;   in Loop: Header=BB3_237 Depth=1
	global_load_dword v0, v[8:9], off offset:20 glc dlc
	s_waitcnt vmcnt(0)
	buffer_gl1_inv
	buffer_gl0_inv
	v_and_b32_e32 v0, 1, v0
	s_branch .LBB3_234
.LBB3_239:
	s_and_saveexec_b32 s5, s4
	s_cbranch_execz .LBB3_243
; %bb.240:
	v_mov_b32_e32 v6, 0
	s_clause 0x2
	global_load_dwordx2 v[2:3], v6, s[26:27] offset:40
	global_load_dwordx2 v[7:8], v6, s[26:27] offset:24 glc dlc
	global_load_dwordx2 v[4:5], v6, s[26:27]
	s_waitcnt vmcnt(2)
	v_add_co_u32 v9, vcc_lo, v2, 1
	v_add_co_ci_u32_e32 v10, vcc_lo, 0, v3, vcc_lo
	v_add_co_u32 v0, vcc_lo, v9, s6
	v_add_co_ci_u32_e32 v1, vcc_lo, s7, v10, vcc_lo
	v_cmp_eq_u64_e32 vcc_lo, 0, v[0:1]
	v_cndmask_b32_e32 v1, v1, v10, vcc_lo
	v_cndmask_b32_e32 v0, v0, v9, vcc_lo
	v_and_b32_e32 v3, v1, v3
	v_and_b32_e32 v2, v0, v2
	v_mul_lo_u32 v3, v3, 24
	v_mul_hi_u32 v9, v2, 24
	v_mul_lo_u32 v2, v2, 24
	v_add_nc_u32_e32 v3, v9, v3
	s_waitcnt vmcnt(0)
	v_add_co_u32 v4, vcc_lo, v4, v2
	v_mov_b32_e32 v2, v7
	v_add_co_ci_u32_e32 v5, vcc_lo, v5, v3, vcc_lo
	v_mov_b32_e32 v3, v8
	global_store_dwordx2 v[4:5], v[7:8], off
	s_waitcnt_vscnt null, 0x0
	global_atomic_cmpswap_x2 v[2:3], v6, v[0:3], s[26:27] offset:24 glc
	s_waitcnt vmcnt(0)
	v_cmp_ne_u64_e32 vcc_lo, v[2:3], v[7:8]
	s_and_b32 exec_lo, exec_lo, vcc_lo
	s_cbranch_execz .LBB3_243
; %bb.241:
	s_mov_b32 s4, 0
.LBB3_242:                              ; =>This Inner Loop Header: Depth=1
	s_sleep 1
	global_store_dwordx2 v[4:5], v[2:3], off
	s_waitcnt_vscnt null, 0x0
	global_atomic_cmpswap_x2 v[7:8], v6, v[0:3], s[26:27] offset:24 glc
	s_waitcnt vmcnt(0)
	v_cmp_eq_u64_e32 vcc_lo, v[7:8], v[2:3]
	v_mov_b32_e32 v2, v7
	v_mov_b32_e32 v3, v8
	s_or_b32 s4, vcc_lo, s4
	s_andn2_b32 exec_lo, exec_lo, s4
	s_cbranch_execnz .LBB3_242
.LBB3_243:
	s_or_b32 exec_lo, exec_lo, s5
.LBB3_244:
	v_readfirstlane_b32 s4, v39
	s_waitcnt vmcnt(0)
	v_mov_b32_e32 v6, 0
	v_mov_b32_e32 v7, 0
	v_cmp_eq_u32_e64 s4, s4, v39
	s_and_saveexec_b32 s5, s4
	s_cbranch_execz .LBB3_250
; %bb.245:
	v_mov_b32_e32 v0, 0
	s_mov_b32 s6, exec_lo
	global_load_dwordx2 v[3:4], v0, s[26:27] offset:24 glc dlc
	s_waitcnt vmcnt(0)
	buffer_gl1_inv
	buffer_gl0_inv
	s_clause 0x1
	global_load_dwordx2 v[1:2], v0, s[26:27] offset:40
	global_load_dwordx2 v[5:6], v0, s[26:27]
	s_waitcnt vmcnt(1)
	v_and_b32_e32 v2, v2, v4
	v_and_b32_e32 v1, v1, v3
	v_mul_lo_u32 v2, v2, 24
	v_mul_hi_u32 v7, v1, 24
	v_mul_lo_u32 v1, v1, 24
	v_add_nc_u32_e32 v2, v7, v2
	s_waitcnt vmcnt(0)
	v_add_co_u32 v1, vcc_lo, v5, v1
	v_add_co_ci_u32_e32 v2, vcc_lo, v6, v2, vcc_lo
	global_load_dwordx2 v[1:2], v[1:2], off glc dlc
	s_waitcnt vmcnt(0)
	global_atomic_cmpswap_x2 v[6:7], v0, v[1:4], s[26:27] offset:24 glc
	s_waitcnt vmcnt(0)
	buffer_gl1_inv
	buffer_gl0_inv
	v_cmpx_ne_u64_e64 v[6:7], v[3:4]
	s_cbranch_execz .LBB3_249
; %bb.246:
	s_mov_b32 s7, 0
	.p2align	6
.LBB3_247:                              ; =>This Inner Loop Header: Depth=1
	s_sleep 1
	s_clause 0x1
	global_load_dwordx2 v[1:2], v0, s[26:27] offset:40
	global_load_dwordx2 v[8:9], v0, s[26:27]
	v_mov_b32_e32 v3, v6
	v_mov_b32_e32 v4, v7
	s_waitcnt vmcnt(1)
	v_and_b32_e32 v1, v1, v3
	v_and_b32_e32 v2, v2, v4
	s_waitcnt vmcnt(0)
	v_mad_u64_u32 v[5:6], null, v1, 24, v[8:9]
	v_mov_b32_e32 v1, v6
	v_mad_u64_u32 v[1:2], null, v2, 24, v[1:2]
	v_mov_b32_e32 v6, v1
	global_load_dwordx2 v[1:2], v[5:6], off glc dlc
	s_waitcnt vmcnt(0)
	global_atomic_cmpswap_x2 v[6:7], v0, v[1:4], s[26:27] offset:24 glc
	s_waitcnt vmcnt(0)
	buffer_gl1_inv
	buffer_gl0_inv
	v_cmp_eq_u64_e32 vcc_lo, v[6:7], v[3:4]
	s_or_b32 s7, vcc_lo, s7
	s_andn2_b32 exec_lo, exec_lo, s7
	s_cbranch_execnz .LBB3_247
; %bb.248:
	s_or_b32 exec_lo, exec_lo, s7
.LBB3_249:
	s_or_b32 exec_lo, exec_lo, s6
.LBB3_250:
	s_or_b32 exec_lo, exec_lo, s5
	v_mov_b32_e32 v5, 0
	v_readfirstlane_b32 s6, v6
	v_readfirstlane_b32 s7, v7
	s_mov_b32 s5, exec_lo
	s_clause 0x1
	global_load_dwordx2 v[8:9], v5, s[26:27] offset:40
	global_load_dwordx4 v[0:3], v5, s[26:27]
	s_waitcnt vmcnt(1)
	v_readfirstlane_b32 s10, v8
	v_readfirstlane_b32 s11, v9
	s_and_b64 s[10:11], s[6:7], s[10:11]
	s_mul_i32 s16, s11, 24
	s_mul_hi_u32 s17, s10, 24
	s_mul_i32 s18, s10, 24
	s_add_i32 s17, s17, s16
	s_waitcnt vmcnt(0)
	v_add_co_u32 v8, vcc_lo, v0, s18
	v_add_co_ci_u32_e32 v9, vcc_lo, s17, v1, vcc_lo
	s_and_saveexec_b32 s16, s4
	s_cbranch_execz .LBB3_252
; %bb.251:
	v_mov_b32_e32 v4, s5
	v_mov_b32_e32 v6, 2
	;; [unrolled: 1-line block ×3, first 2 shown]
	global_store_dwordx4 v[8:9], v[4:7], off offset:8
.LBB3_252:
	s_or_b32 exec_lo, exec_lo, s16
	s_lshl_b64 s[10:11], s[10:11], 12
	s_mov_b32 s16, 0
	v_add_co_u32 v2, vcc_lo, v2, s10
	v_add_co_ci_u32_e32 v3, vcc_lo, s11, v3, vcc_lo
	s_mov_b32 s17, s16
	v_add_co_u32 v10, vcc_lo, v2, v38
	s_mov_b32 s18, s16
	s_mov_b32 s19, s16
	v_mov_b32_e32 v4, 33
	v_mov_b32_e32 v6, v5
	;; [unrolled: 1-line block ×3, first 2 shown]
	v_readfirstlane_b32 s10, v2
	v_readfirstlane_b32 s11, v3
	v_mov_b32_e32 v12, s16
	v_add_co_ci_u32_e32 v11, vcc_lo, 0, v3, vcc_lo
	v_mov_b32_e32 v13, s17
	v_mov_b32_e32 v14, s18
	;; [unrolled: 1-line block ×3, first 2 shown]
	global_store_dwordx4 v38, v[4:7], s[10:11]
	global_store_dwordx4 v38, v[12:15], s[10:11] offset:16
	global_store_dwordx4 v38, v[12:15], s[10:11] offset:32
	global_store_dwordx4 v38, v[12:15], s[10:11] offset:48
	s_and_saveexec_b32 s5, s4
	s_cbranch_execz .LBB3_260
; %bb.253:
	v_mov_b32_e32 v6, 0
	v_mov_b32_e32 v12, s6
	;; [unrolled: 1-line block ×3, first 2 shown]
	s_clause 0x1
	global_load_dwordx2 v[14:15], v6, s[26:27] offset:32 glc dlc
	global_load_dwordx2 v[2:3], v6, s[26:27] offset:40
	s_waitcnt vmcnt(0)
	v_readfirstlane_b32 s10, v2
	v_readfirstlane_b32 s11, v3
	s_and_b64 s[10:11], s[10:11], s[6:7]
	s_mul_i32 s11, s11, 24
	s_mul_hi_u32 s16, s10, 24
	s_mul_i32 s10, s10, 24
	s_add_i32 s16, s16, s11
	v_add_co_u32 v4, vcc_lo, v0, s10
	v_add_co_ci_u32_e32 v5, vcc_lo, s16, v1, vcc_lo
	s_mov_b32 s10, exec_lo
	global_store_dwordx2 v[4:5], v[14:15], off
	s_waitcnt_vscnt null, 0x0
	global_atomic_cmpswap_x2 v[2:3], v6, v[12:15], s[26:27] offset:32 glc
	s_waitcnt vmcnt(0)
	v_cmpx_ne_u64_e64 v[2:3], v[14:15]
	s_cbranch_execz .LBB3_256
; %bb.254:
	s_mov_b32 s11, 0
.LBB3_255:                              ; =>This Inner Loop Header: Depth=1
	v_mov_b32_e32 v0, s6
	v_mov_b32_e32 v1, s7
	s_sleep 1
	global_store_dwordx2 v[4:5], v[2:3], off
	s_waitcnt_vscnt null, 0x0
	global_atomic_cmpswap_x2 v[0:1], v6, v[0:3], s[26:27] offset:32 glc
	s_waitcnt vmcnt(0)
	v_cmp_eq_u64_e32 vcc_lo, v[0:1], v[2:3]
	v_mov_b32_e32 v3, v1
	v_mov_b32_e32 v2, v0
	s_or_b32 s11, vcc_lo, s11
	s_andn2_b32 exec_lo, exec_lo, s11
	s_cbranch_execnz .LBB3_255
.LBB3_256:
	s_or_b32 exec_lo, exec_lo, s10
	v_mov_b32_e32 v3, 0
	s_mov_b32 s11, exec_lo
	s_mov_b32 s10, exec_lo
	v_mbcnt_lo_u32_b32 v2, s11, 0
	global_load_dwordx2 v[0:1], v3, s[26:27] offset:16
	v_cmpx_eq_u32_e32 0, v2
	s_cbranch_execz .LBB3_258
; %bb.257:
	s_bcnt1_i32_b32 s11, s11
	v_mov_b32_e32 v2, s11
	s_waitcnt vmcnt(0)
	global_atomic_add_x2 v[0:1], v[2:3], off offset:8
.LBB3_258:
	s_or_b32 exec_lo, exec_lo, s10
	s_waitcnt vmcnt(0)
	global_load_dwordx2 v[2:3], v[0:1], off offset:16
	s_waitcnt vmcnt(0)
	v_cmp_eq_u64_e32 vcc_lo, 0, v[2:3]
	s_cbranch_vccnz .LBB3_260
; %bb.259:
	global_load_dword v0, v[0:1], off offset:24
	v_mov_b32_e32 v1, 0
	s_waitcnt vmcnt(0)
	v_and_b32_e32 v4, 0x7fffff, v0
	s_waitcnt_vscnt null, 0x0
	global_store_dwordx2 v[2:3], v[0:1], off
	v_readfirstlane_b32 m0, v4
	s_sendmsg sendmsg(MSG_INTERRUPT)
.LBB3_260:
	s_or_b32 exec_lo, exec_lo, s5
	s_branch .LBB3_264
	.p2align	6
.LBB3_261:                              ;   in Loop: Header=BB3_264 Depth=1
	s_or_b32 exec_lo, exec_lo, s5
	v_readfirstlane_b32 s5, v0
	s_cmp_eq_u32 s5, 0
	s_cbranch_scc1 .LBB3_263
; %bb.262:                              ;   in Loop: Header=BB3_264 Depth=1
	s_sleep 1
	s_cbranch_execnz .LBB3_264
	s_branch .LBB3_266
	.p2align	6
.LBB3_263:
	s_branch .LBB3_266
.LBB3_264:                              ; =>This Inner Loop Header: Depth=1
	v_mov_b32_e32 v0, 1
	s_and_saveexec_b32 s5, s4
	s_cbranch_execz .LBB3_261
; %bb.265:                              ;   in Loop: Header=BB3_264 Depth=1
	global_load_dword v0, v[8:9], off offset:20 glc dlc
	s_waitcnt vmcnt(0)
	buffer_gl1_inv
	buffer_gl0_inv
	v_and_b32_e32 v0, 1, v0
	s_branch .LBB3_261
.LBB3_266:
	global_load_dwordx2 v[0:1], v[10:11], off
	s_and_saveexec_b32 s5, s4
	s_cbranch_execz .LBB3_270
; %bb.267:
	v_mov_b32_e32 v8, 0
	s_clause 0x2
	global_load_dwordx2 v[4:5], v8, s[26:27] offset:40
	global_load_dwordx2 v[9:10], v8, s[26:27] offset:24 glc dlc
	global_load_dwordx2 v[6:7], v8, s[26:27]
	s_waitcnt vmcnt(2)
	v_add_co_u32 v11, vcc_lo, v4, 1
	v_add_co_ci_u32_e32 v12, vcc_lo, 0, v5, vcc_lo
	v_add_co_u32 v2, vcc_lo, v11, s6
	v_add_co_ci_u32_e32 v3, vcc_lo, s7, v12, vcc_lo
	v_cmp_eq_u64_e32 vcc_lo, 0, v[2:3]
	v_cndmask_b32_e32 v3, v3, v12, vcc_lo
	v_cndmask_b32_e32 v2, v2, v11, vcc_lo
	v_and_b32_e32 v5, v3, v5
	v_and_b32_e32 v4, v2, v4
	v_mul_lo_u32 v5, v5, 24
	v_mul_hi_u32 v11, v4, 24
	v_mul_lo_u32 v4, v4, 24
	v_add_nc_u32_e32 v5, v11, v5
	s_waitcnt vmcnt(0)
	v_add_co_u32 v6, vcc_lo, v6, v4
	v_mov_b32_e32 v4, v9
	v_add_co_ci_u32_e32 v7, vcc_lo, v7, v5, vcc_lo
	v_mov_b32_e32 v5, v10
	global_store_dwordx2 v[6:7], v[9:10], off
	s_waitcnt_vscnt null, 0x0
	global_atomic_cmpswap_x2 v[4:5], v8, v[2:5], s[26:27] offset:24 glc
	s_waitcnt vmcnt(0)
	v_cmp_ne_u64_e32 vcc_lo, v[4:5], v[9:10]
	s_and_b32 exec_lo, exec_lo, vcc_lo
	s_cbranch_execz .LBB3_270
; %bb.268:
	s_mov_b32 s4, 0
.LBB3_269:                              ; =>This Inner Loop Header: Depth=1
	s_sleep 1
	global_store_dwordx2 v[6:7], v[4:5], off
	s_waitcnt_vscnt null, 0x0
	global_atomic_cmpswap_x2 v[9:10], v8, v[2:5], s[26:27] offset:24 glc
	s_waitcnt vmcnt(0)
	v_cmp_eq_u64_e32 vcc_lo, v[9:10], v[4:5]
	v_mov_b32_e32 v4, v9
	v_mov_b32_e32 v5, v10
	s_or_b32 s4, vcc_lo, s4
	s_andn2_b32 exec_lo, exec_lo, s4
	s_cbranch_execnz .LBB3_269
.LBB3_270:
	s_or_b32 exec_lo, exec_lo, s5
	s_getpc_b64 s[6:7]
	s_add_u32 s6, s6, .str.6@rel32@lo+4
	s_addc_u32 s7, s7, .str.6@rel32@hi+12
	s_cmp_lg_u64 s[6:7], 0
	s_cselect_b32 s34, -1, 0
	s_and_b32 vcc_lo, exec_lo, s34
	s_cbranch_vccz .LBB3_349
; %bb.271:
	s_waitcnt vmcnt(0)
	v_and_b32_e32 v31, 2, v0
	v_mov_b32_e32 v6, 0
	v_and_b32_e32 v2, -3, v0
	v_mov_b32_e32 v3, v1
	v_mov_b32_e32 v7, 2
	;; [unrolled: 1-line block ×3, first 2 shown]
	s_mov_b64 s[10:11], 3
	s_branch .LBB3_273
.LBB3_272:                              ;   in Loop: Header=BB3_273 Depth=1
	s_or_b32 exec_lo, exec_lo, s5
	s_sub_u32 s10, s10, s16
	s_subb_u32 s11, s11, s17
	s_add_u32 s6, s6, s16
	s_addc_u32 s7, s7, s17
	s_cmp_lg_u64 s[10:11], 0
	s_cbranch_scc0 .LBB3_348
.LBB3_273:                              ; =>This Loop Header: Depth=1
                                        ;     Child Loop BB3_282 Depth 2
                                        ;     Child Loop BB3_278 Depth 2
	;; [unrolled: 1-line block ×11, first 2 shown]
	v_cmp_lt_u64_e64 s4, s[10:11], 56
	v_cmp_gt_u64_e64 s5, s[10:11], 7
                                        ; implicit-def: $vgpr11_vgpr12
                                        ; implicit-def: $sgpr23
	s_and_b32 s4, s4, exec_lo
	s_cselect_b32 s17, s11, 0
	s_cselect_b32 s16, s10, 56
	s_and_b32 vcc_lo, exec_lo, s5
	s_mov_b32 s4, -1
	s_cbranch_vccz .LBB3_280
; %bb.274:                              ;   in Loop: Header=BB3_273 Depth=1
	s_andn2_b32 vcc_lo, exec_lo, s4
	s_mov_b64 s[4:5], s[6:7]
	s_cbranch_vccz .LBB3_284
.LBB3_275:                              ;   in Loop: Header=BB3_273 Depth=1
	s_cmp_gt_u32 s23, 7
	s_cbranch_scc1 .LBB3_285
.LBB3_276:                              ;   in Loop: Header=BB3_273 Depth=1
	v_mov_b32_e32 v13, 0
	v_mov_b32_e32 v14, 0
	s_cmp_eq_u32 s23, 0
	s_cbranch_scc1 .LBB3_279
; %bb.277:                              ;   in Loop: Header=BB3_273 Depth=1
	s_mov_b64 s[18:19], 0
	s_mov_b64 s[20:21], 0
.LBB3_278:                              ;   Parent Loop BB3_273 Depth=1
                                        ; =>  This Inner Loop Header: Depth=2
	s_add_u32 s24, s4, s20
	s_addc_u32 s25, s5, s21
	s_add_u32 s20, s20, 1
	global_load_ubyte v4, v6, s[24:25]
	s_addc_u32 s21, s21, 0
	s_waitcnt vmcnt(0)
	v_and_b32_e32 v5, 0xffff, v4
	v_lshlrev_b64 v[4:5], s18, v[5:6]
	s_add_u32 s18, s18, 8
	s_addc_u32 s19, s19, 0
	s_cmp_lg_u32 s23, s20
	v_or_b32_e32 v13, v4, v13
	v_or_b32_e32 v14, v5, v14
	s_cbranch_scc1 .LBB3_278
.LBB3_279:                              ;   in Loop: Header=BB3_273 Depth=1
	s_mov_b32 s24, 0
	s_cbranch_execz .LBB3_286
	s_branch .LBB3_287
.LBB3_280:                              ;   in Loop: Header=BB3_273 Depth=1
	v_mov_b32_e32 v11, 0
	v_mov_b32_e32 v12, 0
	s_cmp_eq_u64 s[10:11], 0
	s_mov_b64 s[4:5], 0
	s_cbranch_scc1 .LBB3_283
; %bb.281:                              ;   in Loop: Header=BB3_273 Depth=1
	v_mov_b32_e32 v11, 0
	v_mov_b32_e32 v12, 0
	s_lshl_b64 s[18:19], s[16:17], 3
	s_mov_b64 s[20:21], s[6:7]
.LBB3_282:                              ;   Parent Loop BB3_273 Depth=1
                                        ; =>  This Inner Loop Header: Depth=2
	global_load_ubyte v4, v6, s[20:21]
	s_waitcnt vmcnt(0)
	v_and_b32_e32 v5, 0xffff, v4
	v_lshlrev_b64 v[4:5], s4, v[5:6]
	s_add_u32 s4, s4, 8
	s_addc_u32 s5, s5, 0
	s_add_u32 s20, s20, 1
	s_addc_u32 s21, s21, 0
	s_cmp_lg_u32 s18, s4
	v_or_b32_e32 v11, v4, v11
	v_or_b32_e32 v12, v5, v12
	s_cbranch_scc1 .LBB3_282
.LBB3_283:                              ;   in Loop: Header=BB3_273 Depth=1
	s_mov_b32 s23, 0
	s_mov_b64 s[4:5], s[6:7]
	s_cbranch_execnz .LBB3_275
.LBB3_284:                              ;   in Loop: Header=BB3_273 Depth=1
	global_load_dwordx2 v[11:12], v6, s[6:7]
	s_add_i32 s23, s16, -8
	s_add_u32 s4, s6, 8
	s_addc_u32 s5, s7, 0
	s_cmp_gt_u32 s23, 7
	s_cbranch_scc0 .LBB3_276
.LBB3_285:                              ;   in Loop: Header=BB3_273 Depth=1
                                        ; implicit-def: $vgpr13_vgpr14
                                        ; implicit-def: $sgpr24
.LBB3_286:                              ;   in Loop: Header=BB3_273 Depth=1
	global_load_dwordx2 v[13:14], v6, s[4:5]
	s_add_i32 s24, s23, -8
	s_add_u32 s4, s4, 8
	s_addc_u32 s5, s5, 0
.LBB3_287:                              ;   in Loop: Header=BB3_273 Depth=1
	s_cmp_gt_u32 s24, 7
	s_cbranch_scc1 .LBB3_292
; %bb.288:                              ;   in Loop: Header=BB3_273 Depth=1
	v_mov_b32_e32 v15, 0
	v_mov_b32_e32 v16, 0
	s_cmp_eq_u32 s24, 0
	s_cbranch_scc1 .LBB3_291
; %bb.289:                              ;   in Loop: Header=BB3_273 Depth=1
	s_mov_b64 s[18:19], 0
	s_mov_b64 s[20:21], 0
.LBB3_290:                              ;   Parent Loop BB3_273 Depth=1
                                        ; =>  This Inner Loop Header: Depth=2
	s_add_u32 vcc_lo, s4, s20
	s_addc_u32 vcc_hi, s5, s21
	s_add_u32 s20, s20, 1
	global_load_ubyte v4, v6, vcc
	s_addc_u32 s21, s21, 0
	s_waitcnt vmcnt(0)
	v_and_b32_e32 v5, 0xffff, v4
	v_lshlrev_b64 v[4:5], s18, v[5:6]
	s_add_u32 s18, s18, 8
	s_addc_u32 s19, s19, 0
	s_cmp_lg_u32 s24, s20
	v_or_b32_e32 v15, v4, v15
	v_or_b32_e32 v16, v5, v16
	s_cbranch_scc1 .LBB3_290
.LBB3_291:                              ;   in Loop: Header=BB3_273 Depth=1
	s_mov_b32 s23, 0
	s_cbranch_execz .LBB3_293
	s_branch .LBB3_294
.LBB3_292:                              ;   in Loop: Header=BB3_273 Depth=1
                                        ; implicit-def: $sgpr23
.LBB3_293:                              ;   in Loop: Header=BB3_273 Depth=1
	global_load_dwordx2 v[15:16], v6, s[4:5]
	s_add_i32 s23, s24, -8
	s_add_u32 s4, s4, 8
	s_addc_u32 s5, s5, 0
.LBB3_294:                              ;   in Loop: Header=BB3_273 Depth=1
	s_cmp_gt_u32 s23, 7
	s_cbranch_scc1 .LBB3_299
; %bb.295:                              ;   in Loop: Header=BB3_273 Depth=1
	v_mov_b32_e32 v17, 0
	v_mov_b32_e32 v18, 0
	s_cmp_eq_u32 s23, 0
	s_cbranch_scc1 .LBB3_298
; %bb.296:                              ;   in Loop: Header=BB3_273 Depth=1
	s_mov_b64 s[18:19], 0
	s_mov_b64 s[20:21], 0
.LBB3_297:                              ;   Parent Loop BB3_273 Depth=1
                                        ; =>  This Inner Loop Header: Depth=2
	s_add_u32 s24, s4, s20
	s_addc_u32 s25, s5, s21
	s_add_u32 s20, s20, 1
	global_load_ubyte v4, v6, s[24:25]
	s_addc_u32 s21, s21, 0
	s_waitcnt vmcnt(0)
	v_and_b32_e32 v5, 0xffff, v4
	v_lshlrev_b64 v[4:5], s18, v[5:6]
	s_add_u32 s18, s18, 8
	s_addc_u32 s19, s19, 0
	s_cmp_lg_u32 s23, s20
	v_or_b32_e32 v17, v4, v17
	v_or_b32_e32 v18, v5, v18
	s_cbranch_scc1 .LBB3_297
.LBB3_298:                              ;   in Loop: Header=BB3_273 Depth=1
	s_mov_b32 s24, 0
	s_cbranch_execz .LBB3_300
	s_branch .LBB3_301
.LBB3_299:                              ;   in Loop: Header=BB3_273 Depth=1
                                        ; implicit-def: $vgpr17_vgpr18
                                        ; implicit-def: $sgpr24
.LBB3_300:                              ;   in Loop: Header=BB3_273 Depth=1
	global_load_dwordx2 v[17:18], v6, s[4:5]
	s_add_i32 s24, s23, -8
	s_add_u32 s4, s4, 8
	s_addc_u32 s5, s5, 0
.LBB3_301:                              ;   in Loop: Header=BB3_273 Depth=1
	s_cmp_gt_u32 s24, 7
	s_cbranch_scc1 .LBB3_306
; %bb.302:                              ;   in Loop: Header=BB3_273 Depth=1
	v_mov_b32_e32 v19, 0
	v_mov_b32_e32 v20, 0
	s_cmp_eq_u32 s24, 0
	s_cbranch_scc1 .LBB3_305
; %bb.303:                              ;   in Loop: Header=BB3_273 Depth=1
	s_mov_b64 s[18:19], 0
	s_mov_b64 s[20:21], 0
.LBB3_304:                              ;   Parent Loop BB3_273 Depth=1
                                        ; =>  This Inner Loop Header: Depth=2
	s_add_u32 vcc_lo, s4, s20
	s_addc_u32 vcc_hi, s5, s21
	s_add_u32 s20, s20, 1
	global_load_ubyte v4, v6, vcc
	s_addc_u32 s21, s21, 0
	s_waitcnt vmcnt(0)
	v_and_b32_e32 v5, 0xffff, v4
	v_lshlrev_b64 v[4:5], s18, v[5:6]
	s_add_u32 s18, s18, 8
	s_addc_u32 s19, s19, 0
	s_cmp_lg_u32 s24, s20
	v_or_b32_e32 v19, v4, v19
	v_or_b32_e32 v20, v5, v20
	s_cbranch_scc1 .LBB3_304
.LBB3_305:                              ;   in Loop: Header=BB3_273 Depth=1
	s_mov_b32 s23, 0
	s_cbranch_execz .LBB3_307
	s_branch .LBB3_308
.LBB3_306:                              ;   in Loop: Header=BB3_273 Depth=1
                                        ; implicit-def: $sgpr23
.LBB3_307:                              ;   in Loop: Header=BB3_273 Depth=1
	global_load_dwordx2 v[19:20], v6, s[4:5]
	s_add_i32 s23, s24, -8
	s_add_u32 s4, s4, 8
	s_addc_u32 s5, s5, 0
.LBB3_308:                              ;   in Loop: Header=BB3_273 Depth=1
	s_cmp_gt_u32 s23, 7
	s_cbranch_scc1 .LBB3_313
; %bb.309:                              ;   in Loop: Header=BB3_273 Depth=1
	v_mov_b32_e32 v21, 0
	v_mov_b32_e32 v22, 0
	s_cmp_eq_u32 s23, 0
	s_cbranch_scc1 .LBB3_312
; %bb.310:                              ;   in Loop: Header=BB3_273 Depth=1
	s_mov_b64 s[18:19], 0
	s_mov_b64 s[20:21], 0
.LBB3_311:                              ;   Parent Loop BB3_273 Depth=1
                                        ; =>  This Inner Loop Header: Depth=2
	s_add_u32 s24, s4, s20
	s_addc_u32 s25, s5, s21
	s_add_u32 s20, s20, 1
	global_load_ubyte v4, v6, s[24:25]
	s_addc_u32 s21, s21, 0
	s_waitcnt vmcnt(0)
	v_and_b32_e32 v5, 0xffff, v4
	v_lshlrev_b64 v[4:5], s18, v[5:6]
	s_add_u32 s18, s18, 8
	s_addc_u32 s19, s19, 0
	s_cmp_lg_u32 s23, s20
	v_or_b32_e32 v21, v4, v21
	v_or_b32_e32 v22, v5, v22
	s_cbranch_scc1 .LBB3_311
.LBB3_312:                              ;   in Loop: Header=BB3_273 Depth=1
	s_mov_b32 s24, 0
	s_cbranch_execz .LBB3_314
	s_branch .LBB3_315
.LBB3_313:                              ;   in Loop: Header=BB3_273 Depth=1
                                        ; implicit-def: $vgpr21_vgpr22
                                        ; implicit-def: $sgpr24
.LBB3_314:                              ;   in Loop: Header=BB3_273 Depth=1
	global_load_dwordx2 v[21:22], v6, s[4:5]
	s_add_i32 s24, s23, -8
	s_add_u32 s4, s4, 8
	s_addc_u32 s5, s5, 0
.LBB3_315:                              ;   in Loop: Header=BB3_273 Depth=1
	s_cmp_gt_u32 s24, 7
	s_cbranch_scc1 .LBB3_320
; %bb.316:                              ;   in Loop: Header=BB3_273 Depth=1
	v_mov_b32_e32 v23, 0
	v_mov_b32_e32 v24, 0
	s_cmp_eq_u32 s24, 0
	s_cbranch_scc1 .LBB3_319
; %bb.317:                              ;   in Loop: Header=BB3_273 Depth=1
	s_mov_b64 s[18:19], 0
	s_mov_b64 s[20:21], s[4:5]
.LBB3_318:                              ;   Parent Loop BB3_273 Depth=1
                                        ; =>  This Inner Loop Header: Depth=2
	global_load_ubyte v4, v6, s[20:21]
	s_add_i32 s24, s24, -1
	s_waitcnt vmcnt(0)
	v_and_b32_e32 v5, 0xffff, v4
	v_lshlrev_b64 v[4:5], s18, v[5:6]
	s_add_u32 s18, s18, 8
	s_addc_u32 s19, s19, 0
	s_add_u32 s20, s20, 1
	s_addc_u32 s21, s21, 0
	s_cmp_lg_u32 s24, 0
	v_or_b32_e32 v23, v4, v23
	v_or_b32_e32 v24, v5, v24
	s_cbranch_scc1 .LBB3_318
.LBB3_319:                              ;   in Loop: Header=BB3_273 Depth=1
	s_cbranch_execz .LBB3_321
	s_branch .LBB3_322
.LBB3_320:                              ;   in Loop: Header=BB3_273 Depth=1
.LBB3_321:                              ;   in Loop: Header=BB3_273 Depth=1
	global_load_dwordx2 v[23:24], v6, s[4:5]
.LBB3_322:                              ;   in Loop: Header=BB3_273 Depth=1
	v_readfirstlane_b32 s4, v39
	s_waitcnt vmcnt(0)
	v_mov_b32_e32 v4, 0
	v_mov_b32_e32 v5, 0
	v_cmp_eq_u32_e64 s4, s4, v39
	s_and_saveexec_b32 s5, s4
	s_cbranch_execz .LBB3_328
; %bb.323:                              ;   in Loop: Header=BB3_273 Depth=1
	global_load_dwordx2 v[27:28], v6, s[26:27] offset:24 glc dlc
	s_waitcnt vmcnt(0)
	buffer_gl1_inv
	buffer_gl0_inv
	s_clause 0x1
	global_load_dwordx2 v[4:5], v6, s[26:27] offset:40
	global_load_dwordx2 v[9:10], v6, s[26:27]
	s_mov_b32 s18, exec_lo
	s_waitcnt vmcnt(1)
	v_and_b32_e32 v5, v5, v28
	v_and_b32_e32 v4, v4, v27
	v_mul_lo_u32 v5, v5, 24
	v_mul_hi_u32 v25, v4, 24
	v_mul_lo_u32 v4, v4, 24
	v_add_nc_u32_e32 v5, v25, v5
	s_waitcnt vmcnt(0)
	v_add_co_u32 v4, vcc_lo, v9, v4
	v_add_co_ci_u32_e32 v5, vcc_lo, v10, v5, vcc_lo
	global_load_dwordx2 v[25:26], v[4:5], off glc dlc
	s_waitcnt vmcnt(0)
	global_atomic_cmpswap_x2 v[4:5], v6, v[25:28], s[26:27] offset:24 glc
	s_waitcnt vmcnt(0)
	buffer_gl1_inv
	buffer_gl0_inv
	v_cmpx_ne_u64_e64 v[4:5], v[27:28]
	s_cbranch_execz .LBB3_327
; %bb.324:                              ;   in Loop: Header=BB3_273 Depth=1
	s_mov_b32 s19, 0
	.p2align	6
.LBB3_325:                              ;   Parent Loop BB3_273 Depth=1
                                        ; =>  This Inner Loop Header: Depth=2
	s_sleep 1
	s_clause 0x1
	global_load_dwordx2 v[9:10], v6, s[26:27] offset:40
	global_load_dwordx2 v[25:26], v6, s[26:27]
	v_mov_b32_e32 v28, v5
	v_mov_b32_e32 v27, v4
	s_waitcnt vmcnt(1)
	v_and_b32_e32 v4, v9, v27
	v_and_b32_e32 v9, v10, v28
	s_waitcnt vmcnt(0)
	v_mad_u64_u32 v[4:5], null, v4, 24, v[25:26]
	v_mad_u64_u32 v[9:10], null, v9, 24, v[5:6]
	v_mov_b32_e32 v5, v9
	global_load_dwordx2 v[25:26], v[4:5], off glc dlc
	s_waitcnt vmcnt(0)
	global_atomic_cmpswap_x2 v[4:5], v6, v[25:28], s[26:27] offset:24 glc
	s_waitcnt vmcnt(0)
	buffer_gl1_inv
	buffer_gl0_inv
	v_cmp_eq_u64_e32 vcc_lo, v[4:5], v[27:28]
	s_or_b32 s19, vcc_lo, s19
	s_andn2_b32 exec_lo, exec_lo, s19
	s_cbranch_execnz .LBB3_325
; %bb.326:                              ;   in Loop: Header=BB3_273 Depth=1
	s_or_b32 exec_lo, exec_lo, s19
.LBB3_327:                              ;   in Loop: Header=BB3_273 Depth=1
	s_or_b32 exec_lo, exec_lo, s18
.LBB3_328:                              ;   in Loop: Header=BB3_273 Depth=1
	s_or_b32 exec_lo, exec_lo, s5
	s_clause 0x1
	global_load_dwordx2 v[9:10], v6, s[26:27] offset:40
	global_load_dwordx4 v[25:28], v6, s[26:27]
	v_readfirstlane_b32 s18, v4
	v_readfirstlane_b32 s19, v5
	s_mov_b32 s5, exec_lo
	s_waitcnt vmcnt(1)
	v_readfirstlane_b32 s20, v9
	v_readfirstlane_b32 s21, v10
	s_and_b64 s[20:21], s[18:19], s[20:21]
	s_mul_i32 s23, s21, 24
	s_mul_hi_u32 s24, s20, 24
	s_mul_i32 s25, s20, 24
	s_add_i32 s24, s24, s23
	s_waitcnt vmcnt(0)
	v_add_co_u32 v29, vcc_lo, v25, s25
	v_add_co_ci_u32_e32 v30, vcc_lo, s24, v26, vcc_lo
	s_and_saveexec_b32 s23, s4
	s_cbranch_execz .LBB3_330
; %bb.329:                              ;   in Loop: Header=BB3_273 Depth=1
	v_mov_b32_e32 v5, s5
	global_store_dwordx4 v[29:30], v[5:8], off offset:8
.LBB3_330:                              ;   in Loop: Header=BB3_273 Depth=1
	s_or_b32 exec_lo, exec_lo, s23
	s_lshl_b64 s[20:21], s[20:21], 12
	v_cmp_gt_u64_e64 vcc_lo, s[10:11], 56
	v_or_b32_e32 v5, v2, v31
	v_add_co_u32 v27, s5, v27, s20
	v_add_co_ci_u32_e64 v28, s5, s21, v28, s5
	s_lshl_b32 s5, s16, 2
	v_or_b32_e32 v4, 0, v3
	v_cndmask_b32_e32 v2, v5, v2, vcc_lo
	s_add_i32 s5, s5, 28
	v_readfirstlane_b32 s20, v27
	s_and_b32 s5, s5, 0x1e0
	v_cndmask_b32_e32 v10, v4, v3, vcc_lo
	v_readfirstlane_b32 s21, v28
	v_and_or_b32 v9, 0xffffff1f, v2, s5
	global_store_dwordx4 v38, v[9:12], s[20:21]
	global_store_dwordx4 v38, v[13:16], s[20:21] offset:16
	global_store_dwordx4 v38, v[17:20], s[20:21] offset:32
	;; [unrolled: 1-line block ×3, first 2 shown]
	s_and_saveexec_b32 s5, s4
	s_cbranch_execz .LBB3_338
; %bb.331:                              ;   in Loop: Header=BB3_273 Depth=1
	s_clause 0x1
	global_load_dwordx2 v[13:14], v6, s[26:27] offset:32 glc dlc
	global_load_dwordx2 v[2:3], v6, s[26:27] offset:40
	v_mov_b32_e32 v11, s18
	v_mov_b32_e32 v12, s19
	s_waitcnt vmcnt(0)
	v_readfirstlane_b32 s20, v2
	v_readfirstlane_b32 s21, v3
	s_and_b64 s[20:21], s[20:21], s[18:19]
	s_mul_i32 s21, s21, 24
	s_mul_hi_u32 s23, s20, 24
	s_mul_i32 s20, s20, 24
	s_add_i32 s23, s23, s21
	v_add_co_u32 v9, vcc_lo, v25, s20
	v_add_co_ci_u32_e32 v10, vcc_lo, s23, v26, vcc_lo
	s_mov_b32 s20, exec_lo
	global_store_dwordx2 v[9:10], v[13:14], off
	s_waitcnt_vscnt null, 0x0
	global_atomic_cmpswap_x2 v[4:5], v6, v[11:14], s[26:27] offset:32 glc
	s_waitcnt vmcnt(0)
	v_cmpx_ne_u64_e64 v[4:5], v[13:14]
	s_cbranch_execz .LBB3_334
; %bb.332:                              ;   in Loop: Header=BB3_273 Depth=1
	s_mov_b32 s21, 0
.LBB3_333:                              ;   Parent Loop BB3_273 Depth=1
                                        ; =>  This Inner Loop Header: Depth=2
	v_mov_b32_e32 v2, s18
	v_mov_b32_e32 v3, s19
	s_sleep 1
	global_store_dwordx2 v[9:10], v[4:5], off
	s_waitcnt_vscnt null, 0x0
	global_atomic_cmpswap_x2 v[2:3], v6, v[2:5], s[26:27] offset:32 glc
	s_waitcnt vmcnt(0)
	v_cmp_eq_u64_e32 vcc_lo, v[2:3], v[4:5]
	v_mov_b32_e32 v5, v3
	v_mov_b32_e32 v4, v2
	s_or_b32 s21, vcc_lo, s21
	s_andn2_b32 exec_lo, exec_lo, s21
	s_cbranch_execnz .LBB3_333
.LBB3_334:                              ;   in Loop: Header=BB3_273 Depth=1
	s_or_b32 exec_lo, exec_lo, s20
	global_load_dwordx2 v[2:3], v6, s[26:27] offset:16
	s_mov_b32 s21, exec_lo
	s_mov_b32 s20, exec_lo
	v_mbcnt_lo_u32_b32 v4, s21, 0
	v_cmpx_eq_u32_e32 0, v4
	s_cbranch_execz .LBB3_336
; %bb.335:                              ;   in Loop: Header=BB3_273 Depth=1
	s_bcnt1_i32_b32 s21, s21
	v_mov_b32_e32 v5, s21
	s_waitcnt vmcnt(0)
	global_atomic_add_x2 v[2:3], v[5:6], off offset:8
.LBB3_336:                              ;   in Loop: Header=BB3_273 Depth=1
	s_or_b32 exec_lo, exec_lo, s20
	s_waitcnt vmcnt(0)
	global_load_dwordx2 v[9:10], v[2:3], off offset:16
	s_waitcnt vmcnt(0)
	v_cmp_eq_u64_e32 vcc_lo, 0, v[9:10]
	s_cbranch_vccnz .LBB3_338
; %bb.337:                              ;   in Loop: Header=BB3_273 Depth=1
	global_load_dword v5, v[2:3], off offset:24
	s_waitcnt vmcnt(0)
	v_and_b32_e32 v2, 0x7fffff, v5
	s_waitcnt_vscnt null, 0x0
	global_store_dwordx2 v[9:10], v[5:6], off
	v_readfirstlane_b32 m0, v2
	s_sendmsg sendmsg(MSG_INTERRUPT)
.LBB3_338:                              ;   in Loop: Header=BB3_273 Depth=1
	s_or_b32 exec_lo, exec_lo, s5
	v_add_co_u32 v2, vcc_lo, v27, v38
	v_add_co_ci_u32_e32 v3, vcc_lo, 0, v28, vcc_lo
	s_branch .LBB3_342
	.p2align	6
.LBB3_339:                              ;   in Loop: Header=BB3_342 Depth=2
	s_or_b32 exec_lo, exec_lo, s5
	v_readfirstlane_b32 s5, v4
	s_cmp_eq_u32 s5, 0
	s_cbranch_scc1 .LBB3_341
; %bb.340:                              ;   in Loop: Header=BB3_342 Depth=2
	s_sleep 1
	s_cbranch_execnz .LBB3_342
	s_branch .LBB3_344
	.p2align	6
.LBB3_341:                              ;   in Loop: Header=BB3_273 Depth=1
	s_branch .LBB3_344
.LBB3_342:                              ;   Parent Loop BB3_273 Depth=1
                                        ; =>  This Inner Loop Header: Depth=2
	v_mov_b32_e32 v4, 1
	s_and_saveexec_b32 s5, s4
	s_cbranch_execz .LBB3_339
; %bb.343:                              ;   in Loop: Header=BB3_342 Depth=2
	global_load_dword v4, v[29:30], off offset:20 glc dlc
	s_waitcnt vmcnt(0)
	buffer_gl1_inv
	buffer_gl0_inv
	v_and_b32_e32 v4, 1, v4
	s_branch .LBB3_339
.LBB3_344:                              ;   in Loop: Header=BB3_273 Depth=1
	global_load_dwordx4 v[2:5], v[2:3], off
	s_and_saveexec_b32 s5, s4
	s_cbranch_execz .LBB3_272
; %bb.345:                              ;   in Loop: Header=BB3_273 Depth=1
	s_clause 0x2
	global_load_dwordx2 v[4:5], v6, s[26:27] offset:40
	global_load_dwordx2 v[13:14], v6, s[26:27] offset:24 glc dlc
	global_load_dwordx2 v[11:12], v6, s[26:27]
	s_waitcnt vmcnt(2)
	v_add_co_u32 v15, vcc_lo, v4, 1
	v_add_co_ci_u32_e32 v16, vcc_lo, 0, v5, vcc_lo
	v_add_co_u32 v9, vcc_lo, v15, s18
	v_add_co_ci_u32_e32 v10, vcc_lo, s19, v16, vcc_lo
	v_cmp_eq_u64_e32 vcc_lo, 0, v[9:10]
	v_cndmask_b32_e32 v10, v10, v16, vcc_lo
	v_cndmask_b32_e32 v9, v9, v15, vcc_lo
	v_and_b32_e32 v5, v10, v5
	v_and_b32_e32 v4, v9, v4
	v_mul_lo_u32 v5, v5, 24
	v_mul_hi_u32 v15, v4, 24
	v_mul_lo_u32 v4, v4, 24
	v_add_nc_u32_e32 v5, v15, v5
	s_waitcnt vmcnt(0)
	v_add_co_u32 v4, vcc_lo, v11, v4
	v_mov_b32_e32 v11, v13
	v_add_co_ci_u32_e32 v5, vcc_lo, v12, v5, vcc_lo
	v_mov_b32_e32 v12, v14
	global_store_dwordx2 v[4:5], v[13:14], off
	s_waitcnt_vscnt null, 0x0
	global_atomic_cmpswap_x2 v[11:12], v6, v[9:12], s[26:27] offset:24 glc
	s_waitcnt vmcnt(0)
	v_cmp_ne_u64_e32 vcc_lo, v[11:12], v[13:14]
	s_and_b32 exec_lo, exec_lo, vcc_lo
	s_cbranch_execz .LBB3_272
; %bb.346:                              ;   in Loop: Header=BB3_273 Depth=1
	s_mov_b32 s4, 0
.LBB3_347:                              ;   Parent Loop BB3_273 Depth=1
                                        ; =>  This Inner Loop Header: Depth=2
	s_sleep 1
	global_store_dwordx2 v[4:5], v[11:12], off
	s_waitcnt_vscnt null, 0x0
	global_atomic_cmpswap_x2 v[13:14], v6, v[9:12], s[26:27] offset:24 glc
	s_waitcnt vmcnt(0)
	v_cmp_eq_u64_e32 vcc_lo, v[13:14], v[11:12]
	v_mov_b32_e32 v11, v13
	v_mov_b32_e32 v12, v14
	s_or_b32 s4, vcc_lo, s4
	s_andn2_b32 exec_lo, exec_lo, s4
	s_cbranch_execnz .LBB3_347
	s_branch .LBB3_272
.LBB3_348:
	s_branch .LBB3_377
.LBB3_349:
                                        ; implicit-def: $vgpr2_vgpr3
	s_cbranch_execz .LBB3_377
; %bb.350:
	v_readfirstlane_b32 s4, v39
	v_mov_b32_e32 v8, 0
	v_mov_b32_e32 v9, 0
	v_cmp_eq_u32_e64 s4, s4, v39
	s_and_saveexec_b32 s5, s4
	s_cbranch_execz .LBB3_356
; %bb.351:
	s_waitcnt vmcnt(0)
	v_mov_b32_e32 v2, 0
	s_mov_b32 s6, exec_lo
	global_load_dwordx2 v[5:6], v2, s[26:27] offset:24 glc dlc
	s_waitcnt vmcnt(0)
	buffer_gl1_inv
	buffer_gl0_inv
	s_clause 0x1
	global_load_dwordx2 v[3:4], v2, s[26:27] offset:40
	global_load_dwordx2 v[7:8], v2, s[26:27]
	s_waitcnt vmcnt(1)
	v_and_b32_e32 v4, v4, v6
	v_and_b32_e32 v3, v3, v5
	v_mul_lo_u32 v4, v4, 24
	v_mul_hi_u32 v9, v3, 24
	v_mul_lo_u32 v3, v3, 24
	v_add_nc_u32_e32 v4, v9, v4
	s_waitcnt vmcnt(0)
	v_add_co_u32 v3, vcc_lo, v7, v3
	v_add_co_ci_u32_e32 v4, vcc_lo, v8, v4, vcc_lo
	global_load_dwordx2 v[3:4], v[3:4], off glc dlc
	s_waitcnt vmcnt(0)
	global_atomic_cmpswap_x2 v[8:9], v2, v[3:6], s[26:27] offset:24 glc
	s_waitcnt vmcnt(0)
	buffer_gl1_inv
	buffer_gl0_inv
	v_cmpx_ne_u64_e64 v[8:9], v[5:6]
	s_cbranch_execz .LBB3_355
; %bb.352:
	s_mov_b32 s7, 0
	.p2align	6
.LBB3_353:                              ; =>This Inner Loop Header: Depth=1
	s_sleep 1
	s_clause 0x1
	global_load_dwordx2 v[3:4], v2, s[26:27] offset:40
	global_load_dwordx2 v[10:11], v2, s[26:27]
	v_mov_b32_e32 v5, v8
	v_mov_b32_e32 v6, v9
	s_waitcnt vmcnt(1)
	v_and_b32_e32 v3, v3, v5
	v_and_b32_e32 v4, v4, v6
	s_waitcnt vmcnt(0)
	v_mad_u64_u32 v[7:8], null, v3, 24, v[10:11]
	v_mov_b32_e32 v3, v8
	v_mad_u64_u32 v[3:4], null, v4, 24, v[3:4]
	v_mov_b32_e32 v8, v3
	global_load_dwordx2 v[3:4], v[7:8], off glc dlc
	s_waitcnt vmcnt(0)
	global_atomic_cmpswap_x2 v[8:9], v2, v[3:6], s[26:27] offset:24 glc
	s_waitcnt vmcnt(0)
	buffer_gl1_inv
	buffer_gl0_inv
	v_cmp_eq_u64_e32 vcc_lo, v[8:9], v[5:6]
	s_or_b32 s7, vcc_lo, s7
	s_andn2_b32 exec_lo, exec_lo, s7
	s_cbranch_execnz .LBB3_353
; %bb.354:
	s_or_b32 exec_lo, exec_lo, s7
.LBB3_355:
	s_or_b32 exec_lo, exec_lo, s6
.LBB3_356:
	s_or_b32 exec_lo, exec_lo, s5
	s_waitcnt vmcnt(0)
	v_mov_b32_e32 v2, 0
	v_readfirstlane_b32 s6, v8
	v_readfirstlane_b32 s7, v9
	s_mov_b32 s5, exec_lo
	s_clause 0x1
	global_load_dwordx2 v[10:11], v2, s[26:27] offset:40
	global_load_dwordx4 v[4:7], v2, s[26:27]
	s_waitcnt vmcnt(1)
	v_readfirstlane_b32 s10, v10
	v_readfirstlane_b32 s11, v11
	s_and_b64 s[10:11], s[6:7], s[10:11]
	s_mul_i32 s16, s11, 24
	s_mul_hi_u32 s17, s10, 24
	s_mul_i32 s18, s10, 24
	s_add_i32 s17, s17, s16
	s_waitcnt vmcnt(0)
	v_add_co_u32 v8, vcc_lo, v4, s18
	v_add_co_ci_u32_e32 v9, vcc_lo, s17, v5, vcc_lo
	s_and_saveexec_b32 s16, s4
	s_cbranch_execz .LBB3_358
; %bb.357:
	v_mov_b32_e32 v10, s5
	v_mov_b32_e32 v11, v2
	;; [unrolled: 1-line block ×4, first 2 shown]
	global_store_dwordx4 v[8:9], v[10:13], off offset:8
.LBB3_358:
	s_or_b32 exec_lo, exec_lo, s16
	s_lshl_b64 s[10:11], s[10:11], 12
	s_mov_b32 s16, 0
	v_add_co_u32 v6, vcc_lo, v6, s10
	v_add_co_ci_u32_e32 v7, vcc_lo, s11, v7, vcc_lo
	s_mov_b32 s17, s16
	v_readfirstlane_b32 s10, v6
	v_add_co_u32 v6, vcc_lo, v6, v38
	s_mov_b32 s18, s16
	s_mov_b32 s19, s16
	v_and_or_b32 v0, 0xffffff1f, v0, 32
	v_mov_b32_e32 v3, v2
	v_readfirstlane_b32 s11, v7
	v_mov_b32_e32 v10, s16
	v_add_co_ci_u32_e32 v7, vcc_lo, 0, v7, vcc_lo
	v_mov_b32_e32 v11, s17
	v_mov_b32_e32 v12, s18
	;; [unrolled: 1-line block ×3, first 2 shown]
	global_store_dwordx4 v38, v[0:3], s[10:11]
	global_store_dwordx4 v38, v[10:13], s[10:11] offset:16
	global_store_dwordx4 v38, v[10:13], s[10:11] offset:32
	;; [unrolled: 1-line block ×3, first 2 shown]
	s_and_saveexec_b32 s5, s4
	s_cbranch_execz .LBB3_366
; %bb.359:
	v_mov_b32_e32 v10, 0
	v_mov_b32_e32 v11, s6
	;; [unrolled: 1-line block ×3, first 2 shown]
	s_clause 0x1
	global_load_dwordx2 v[13:14], v10, s[26:27] offset:32 glc dlc
	global_load_dwordx2 v[0:1], v10, s[26:27] offset:40
	s_waitcnt vmcnt(0)
	v_readfirstlane_b32 s10, v0
	v_readfirstlane_b32 s11, v1
	s_and_b64 s[10:11], s[10:11], s[6:7]
	s_mul_i32 s11, s11, 24
	s_mul_hi_u32 s16, s10, 24
	s_mul_i32 s10, s10, 24
	s_add_i32 s16, s16, s11
	v_add_co_u32 v4, vcc_lo, v4, s10
	v_add_co_ci_u32_e32 v5, vcc_lo, s16, v5, vcc_lo
	s_mov_b32 s10, exec_lo
	global_store_dwordx2 v[4:5], v[13:14], off
	s_waitcnt_vscnt null, 0x0
	global_atomic_cmpswap_x2 v[2:3], v10, v[11:14], s[26:27] offset:32 glc
	s_waitcnt vmcnt(0)
	v_cmpx_ne_u64_e64 v[2:3], v[13:14]
	s_cbranch_execz .LBB3_362
; %bb.360:
	s_mov_b32 s11, 0
.LBB3_361:                              ; =>This Inner Loop Header: Depth=1
	v_mov_b32_e32 v0, s6
	v_mov_b32_e32 v1, s7
	s_sleep 1
	global_store_dwordx2 v[4:5], v[2:3], off
	s_waitcnt_vscnt null, 0x0
	global_atomic_cmpswap_x2 v[0:1], v10, v[0:3], s[26:27] offset:32 glc
	s_waitcnt vmcnt(0)
	v_cmp_eq_u64_e32 vcc_lo, v[0:1], v[2:3]
	v_mov_b32_e32 v3, v1
	v_mov_b32_e32 v2, v0
	s_or_b32 s11, vcc_lo, s11
	s_andn2_b32 exec_lo, exec_lo, s11
	s_cbranch_execnz .LBB3_361
.LBB3_362:
	s_or_b32 exec_lo, exec_lo, s10
	v_mov_b32_e32 v3, 0
	s_mov_b32 s11, exec_lo
	s_mov_b32 s10, exec_lo
	v_mbcnt_lo_u32_b32 v2, s11, 0
	global_load_dwordx2 v[0:1], v3, s[26:27] offset:16
	v_cmpx_eq_u32_e32 0, v2
	s_cbranch_execz .LBB3_364
; %bb.363:
	s_bcnt1_i32_b32 s11, s11
	v_mov_b32_e32 v2, s11
	s_waitcnt vmcnt(0)
	global_atomic_add_x2 v[0:1], v[2:3], off offset:8
.LBB3_364:
	s_or_b32 exec_lo, exec_lo, s10
	s_waitcnt vmcnt(0)
	global_load_dwordx2 v[2:3], v[0:1], off offset:16
	s_waitcnt vmcnt(0)
	v_cmp_eq_u64_e32 vcc_lo, 0, v[2:3]
	s_cbranch_vccnz .LBB3_366
; %bb.365:
	global_load_dword v0, v[0:1], off offset:24
	v_mov_b32_e32 v1, 0
	s_waitcnt vmcnt(0)
	v_and_b32_e32 v4, 0x7fffff, v0
	s_waitcnt_vscnt null, 0x0
	global_store_dwordx2 v[2:3], v[0:1], off
	v_readfirstlane_b32 m0, v4
	s_sendmsg sendmsg(MSG_INTERRUPT)
.LBB3_366:
	s_or_b32 exec_lo, exec_lo, s5
	s_branch .LBB3_370
	.p2align	6
.LBB3_367:                              ;   in Loop: Header=BB3_370 Depth=1
	s_or_b32 exec_lo, exec_lo, s5
	v_readfirstlane_b32 s5, v0
	s_cmp_eq_u32 s5, 0
	s_cbranch_scc1 .LBB3_369
; %bb.368:                              ;   in Loop: Header=BB3_370 Depth=1
	s_sleep 1
	s_cbranch_execnz .LBB3_370
	s_branch .LBB3_372
	.p2align	6
.LBB3_369:
	s_branch .LBB3_372
.LBB3_370:                              ; =>This Inner Loop Header: Depth=1
	v_mov_b32_e32 v0, 1
	s_and_saveexec_b32 s5, s4
	s_cbranch_execz .LBB3_367
; %bb.371:                              ;   in Loop: Header=BB3_370 Depth=1
	global_load_dword v0, v[8:9], off offset:20 glc dlc
	s_waitcnt vmcnt(0)
	buffer_gl1_inv
	buffer_gl0_inv
	v_and_b32_e32 v0, 1, v0
	s_branch .LBB3_367
.LBB3_372:
	global_load_dwordx2 v[2:3], v[6:7], off
	s_and_saveexec_b32 s5, s4
	s_cbranch_execz .LBB3_376
; %bb.373:
	v_mov_b32_e32 v8, 0
	s_clause 0x2
	global_load_dwordx2 v[0:1], v8, s[26:27] offset:40
	global_load_dwordx2 v[9:10], v8, s[26:27] offset:24 glc dlc
	global_load_dwordx2 v[6:7], v8, s[26:27]
	s_waitcnt vmcnt(2)
	v_add_co_u32 v11, vcc_lo, v0, 1
	v_add_co_ci_u32_e32 v12, vcc_lo, 0, v1, vcc_lo
	v_add_co_u32 v4, vcc_lo, v11, s6
	v_add_co_ci_u32_e32 v5, vcc_lo, s7, v12, vcc_lo
	v_cmp_eq_u64_e32 vcc_lo, 0, v[4:5]
	v_cndmask_b32_e32 v5, v5, v12, vcc_lo
	v_cndmask_b32_e32 v4, v4, v11, vcc_lo
	v_and_b32_e32 v1, v5, v1
	v_and_b32_e32 v0, v4, v0
	v_mul_lo_u32 v1, v1, 24
	v_mul_hi_u32 v11, v0, 24
	v_mul_lo_u32 v0, v0, 24
	v_add_nc_u32_e32 v1, v11, v1
	s_waitcnt vmcnt(0)
	v_add_co_u32 v0, vcc_lo, v6, v0
	v_mov_b32_e32 v6, v9
	v_add_co_ci_u32_e32 v1, vcc_lo, v7, v1, vcc_lo
	v_mov_b32_e32 v7, v10
	global_store_dwordx2 v[0:1], v[9:10], off
	s_waitcnt_vscnt null, 0x0
	global_atomic_cmpswap_x2 v[6:7], v8, v[4:7], s[26:27] offset:24 glc
	s_waitcnt vmcnt(0)
	v_cmp_ne_u64_e32 vcc_lo, v[6:7], v[9:10]
	s_and_b32 exec_lo, exec_lo, vcc_lo
	s_cbranch_execz .LBB3_376
; %bb.374:
	s_mov_b32 s4, 0
.LBB3_375:                              ; =>This Inner Loop Header: Depth=1
	s_sleep 1
	global_store_dwordx2 v[0:1], v[6:7], off
	s_waitcnt_vscnt null, 0x0
	global_atomic_cmpswap_x2 v[9:10], v8, v[4:7], s[26:27] offset:24 glc
	s_waitcnt vmcnt(0)
	v_cmp_eq_u64_e32 vcc_lo, v[9:10], v[6:7]
	v_mov_b32_e32 v6, v9
	v_mov_b32_e32 v7, v10
	s_or_b32 s4, vcc_lo, s4
	s_andn2_b32 exec_lo, exec_lo, s4
	s_cbranch_execnz .LBB3_375
.LBB3_376:
	s_or_b32 exec_lo, exec_lo, s5
.LBB3_377:
	v_readfirstlane_b32 s4, v39
	s_waitcnt vmcnt(0)
	v_mov_b32_e32 v0, 0
	v_mov_b32_e32 v1, 0
	v_cmp_eq_u32_e64 s4, s4, v39
	s_and_saveexec_b32 s5, s4
	s_cbranch_execz .LBB3_383
; %bb.378:
	v_mov_b32_e32 v4, 0
	s_mov_b32 s6, exec_lo
	global_load_dwordx2 v[7:8], v4, s[26:27] offset:24 glc dlc
	s_waitcnt vmcnt(0)
	buffer_gl1_inv
	buffer_gl0_inv
	s_clause 0x1
	global_load_dwordx2 v[0:1], v4, s[26:27] offset:40
	global_load_dwordx2 v[5:6], v4, s[26:27]
	s_waitcnt vmcnt(1)
	v_and_b32_e32 v1, v1, v8
	v_and_b32_e32 v0, v0, v7
	v_mul_lo_u32 v1, v1, 24
	v_mul_hi_u32 v9, v0, 24
	v_mul_lo_u32 v0, v0, 24
	v_add_nc_u32_e32 v1, v9, v1
	s_waitcnt vmcnt(0)
	v_add_co_u32 v0, vcc_lo, v5, v0
	v_add_co_ci_u32_e32 v1, vcc_lo, v6, v1, vcc_lo
	global_load_dwordx2 v[5:6], v[0:1], off glc dlc
	s_waitcnt vmcnt(0)
	global_atomic_cmpswap_x2 v[0:1], v4, v[5:8], s[26:27] offset:24 glc
	s_waitcnt vmcnt(0)
	buffer_gl1_inv
	buffer_gl0_inv
	v_cmpx_ne_u64_e64 v[0:1], v[7:8]
	s_cbranch_execz .LBB3_382
; %bb.379:
	s_mov_b32 s7, 0
	.p2align	6
.LBB3_380:                              ; =>This Inner Loop Header: Depth=1
	s_sleep 1
	s_clause 0x1
	global_load_dwordx2 v[5:6], v4, s[26:27] offset:40
	global_load_dwordx2 v[9:10], v4, s[26:27]
	v_mov_b32_e32 v8, v1
	v_mov_b32_e32 v7, v0
	s_waitcnt vmcnt(1)
	v_and_b32_e32 v0, v5, v7
	v_and_b32_e32 v5, v6, v8
	s_waitcnt vmcnt(0)
	v_mad_u64_u32 v[0:1], null, v0, 24, v[9:10]
	v_mad_u64_u32 v[5:6], null, v5, 24, v[1:2]
	v_mov_b32_e32 v1, v5
	global_load_dwordx2 v[5:6], v[0:1], off glc dlc
	s_waitcnt vmcnt(0)
	global_atomic_cmpswap_x2 v[0:1], v4, v[5:8], s[26:27] offset:24 glc
	s_waitcnt vmcnt(0)
	buffer_gl1_inv
	buffer_gl0_inv
	v_cmp_eq_u64_e32 vcc_lo, v[0:1], v[7:8]
	s_or_b32 s7, vcc_lo, s7
	s_andn2_b32 exec_lo, exec_lo, s7
	s_cbranch_execnz .LBB3_380
; %bb.381:
	s_or_b32 exec_lo, exec_lo, s7
.LBB3_382:
	s_or_b32 exec_lo, exec_lo, s6
.LBB3_383:
	s_or_b32 exec_lo, exec_lo, s5
	v_mov_b32_e32 v5, 0
	v_readfirstlane_b32 s6, v0
	v_readfirstlane_b32 s7, v1
	s_mov_b32 s5, exec_lo
	s_clause 0x1
	global_load_dwordx2 v[10:11], v5, s[26:27] offset:40
	global_load_dwordx4 v[6:9], v5, s[26:27]
	s_waitcnt vmcnt(1)
	v_readfirstlane_b32 s10, v10
	v_readfirstlane_b32 s11, v11
	s_and_b64 s[10:11], s[6:7], s[10:11]
	s_mul_i32 s16, s11, 24
	s_mul_hi_u32 s17, s10, 24
	s_mul_i32 s18, s10, 24
	s_add_i32 s17, s17, s16
	s_waitcnt vmcnt(0)
	v_add_co_u32 v10, vcc_lo, v6, s18
	v_add_co_ci_u32_e32 v11, vcc_lo, s17, v7, vcc_lo
	s_and_saveexec_b32 s16, s4
	s_cbranch_execz .LBB3_385
; %bb.384:
	v_mov_b32_e32 v4, s5
	v_mov_b32_e32 v13, v5
	;; [unrolled: 1-line block ×5, first 2 shown]
	global_store_dwordx4 v[10:11], v[12:15], off offset:8
.LBB3_385:
	s_or_b32 exec_lo, exec_lo, s16
	s_lshl_b64 s[10:11], s[10:11], 12
	s_mov_b32 s16, 0
	v_add_co_u32 v0, vcc_lo, v8, s10
	v_add_co_ci_u32_e32 v1, vcc_lo, s11, v9, vcc_lo
	s_mov_b32 s17, s16
	s_mov_b32 s18, s16
	;; [unrolled: 1-line block ×3, first 2 shown]
	v_and_or_b32 v2, 0xffffff1d, v2, 34
	v_mov_b32_e32 v4, 10
	v_readfirstlane_b32 s10, v0
	v_readfirstlane_b32 s11, v1
	v_mov_b32_e32 v12, s16
	v_mov_b32_e32 v13, s17
	;; [unrolled: 1-line block ×4, first 2 shown]
	global_store_dwordx4 v38, v[2:5], s[10:11]
	global_store_dwordx4 v38, v[12:15], s[10:11] offset:16
	global_store_dwordx4 v38, v[12:15], s[10:11] offset:32
	;; [unrolled: 1-line block ×3, first 2 shown]
	s_and_saveexec_b32 s5, s4
	s_cbranch_execz .LBB3_393
; %bb.386:
	v_mov_b32_e32 v8, 0
	v_mov_b32_e32 v12, s6
	;; [unrolled: 1-line block ×3, first 2 shown]
	s_clause 0x1
	global_load_dwordx2 v[14:15], v8, s[26:27] offset:32 glc dlc
	global_load_dwordx2 v[0:1], v8, s[26:27] offset:40
	s_waitcnt vmcnt(0)
	v_readfirstlane_b32 s10, v0
	v_readfirstlane_b32 s11, v1
	s_and_b64 s[10:11], s[10:11], s[6:7]
	s_mul_i32 s11, s11, 24
	s_mul_hi_u32 s16, s10, 24
	s_mul_i32 s10, s10, 24
	s_add_i32 s16, s16, s11
	v_add_co_u32 v4, vcc_lo, v6, s10
	v_add_co_ci_u32_e32 v5, vcc_lo, s16, v7, vcc_lo
	s_mov_b32 s10, exec_lo
	global_store_dwordx2 v[4:5], v[14:15], off
	s_waitcnt_vscnt null, 0x0
	global_atomic_cmpswap_x2 v[2:3], v8, v[12:15], s[26:27] offset:32 glc
	s_waitcnt vmcnt(0)
	v_cmpx_ne_u64_e64 v[2:3], v[14:15]
	s_cbranch_execz .LBB3_389
; %bb.387:
	s_mov_b32 s11, 0
.LBB3_388:                              ; =>This Inner Loop Header: Depth=1
	v_mov_b32_e32 v0, s6
	v_mov_b32_e32 v1, s7
	s_sleep 1
	global_store_dwordx2 v[4:5], v[2:3], off
	s_waitcnt_vscnt null, 0x0
	global_atomic_cmpswap_x2 v[0:1], v8, v[0:3], s[26:27] offset:32 glc
	s_waitcnt vmcnt(0)
	v_cmp_eq_u64_e32 vcc_lo, v[0:1], v[2:3]
	v_mov_b32_e32 v3, v1
	v_mov_b32_e32 v2, v0
	s_or_b32 s11, vcc_lo, s11
	s_andn2_b32 exec_lo, exec_lo, s11
	s_cbranch_execnz .LBB3_388
.LBB3_389:
	s_or_b32 exec_lo, exec_lo, s10
	v_mov_b32_e32 v3, 0
	s_mov_b32 s11, exec_lo
	s_mov_b32 s10, exec_lo
	v_mbcnt_lo_u32_b32 v2, s11, 0
	global_load_dwordx2 v[0:1], v3, s[26:27] offset:16
	v_cmpx_eq_u32_e32 0, v2
	s_cbranch_execz .LBB3_391
; %bb.390:
	s_bcnt1_i32_b32 s11, s11
	v_mov_b32_e32 v2, s11
	s_waitcnt vmcnt(0)
	global_atomic_add_x2 v[0:1], v[2:3], off offset:8
.LBB3_391:
	s_or_b32 exec_lo, exec_lo, s10
	s_waitcnt vmcnt(0)
	global_load_dwordx2 v[2:3], v[0:1], off offset:16
	s_waitcnt vmcnt(0)
	v_cmp_eq_u64_e32 vcc_lo, 0, v[2:3]
	s_cbranch_vccnz .LBB3_393
; %bb.392:
	global_load_dword v0, v[0:1], off offset:24
	v_mov_b32_e32 v1, 0
	s_waitcnt vmcnt(0)
	v_and_b32_e32 v4, 0x7fffff, v0
	s_waitcnt_vscnt null, 0x0
	global_store_dwordx2 v[2:3], v[0:1], off
	v_readfirstlane_b32 m0, v4
	s_sendmsg sendmsg(MSG_INTERRUPT)
.LBB3_393:
	s_or_b32 exec_lo, exec_lo, s5
	s_branch .LBB3_397
	.p2align	6
.LBB3_394:                              ;   in Loop: Header=BB3_397 Depth=1
	s_or_b32 exec_lo, exec_lo, s5
	v_readfirstlane_b32 s5, v0
	s_cmp_eq_u32 s5, 0
	s_cbranch_scc1 .LBB3_396
; %bb.395:                              ;   in Loop: Header=BB3_397 Depth=1
	s_sleep 1
	s_cbranch_execnz .LBB3_397
	s_branch .LBB3_399
	.p2align	6
.LBB3_396:
	s_branch .LBB3_399
.LBB3_397:                              ; =>This Inner Loop Header: Depth=1
	v_mov_b32_e32 v0, 1
	s_and_saveexec_b32 s5, s4
	s_cbranch_execz .LBB3_394
; %bb.398:                              ;   in Loop: Header=BB3_397 Depth=1
	global_load_dword v0, v[10:11], off offset:20 glc dlc
	s_waitcnt vmcnt(0)
	buffer_gl1_inv
	buffer_gl0_inv
	v_and_b32_e32 v0, 1, v0
	s_branch .LBB3_394
.LBB3_399:
	s_and_saveexec_b32 s5, s4
	s_cbranch_execz .LBB3_403
; %bb.400:
	v_mov_b32_e32 v6, 0
	s_clause 0x2
	global_load_dwordx2 v[2:3], v6, s[26:27] offset:40
	global_load_dwordx2 v[7:8], v6, s[26:27] offset:24 glc dlc
	global_load_dwordx2 v[4:5], v6, s[26:27]
	s_waitcnt vmcnt(2)
	v_add_co_u32 v9, vcc_lo, v2, 1
	v_add_co_ci_u32_e32 v10, vcc_lo, 0, v3, vcc_lo
	v_add_co_u32 v0, vcc_lo, v9, s6
	v_add_co_ci_u32_e32 v1, vcc_lo, s7, v10, vcc_lo
	v_cmp_eq_u64_e32 vcc_lo, 0, v[0:1]
	v_cndmask_b32_e32 v1, v1, v10, vcc_lo
	v_cndmask_b32_e32 v0, v0, v9, vcc_lo
	v_and_b32_e32 v3, v1, v3
	v_and_b32_e32 v2, v0, v2
	v_mul_lo_u32 v3, v3, 24
	v_mul_hi_u32 v9, v2, 24
	v_mul_lo_u32 v2, v2, 24
	v_add_nc_u32_e32 v3, v9, v3
	s_waitcnt vmcnt(0)
	v_add_co_u32 v4, vcc_lo, v4, v2
	v_mov_b32_e32 v2, v7
	v_add_co_ci_u32_e32 v5, vcc_lo, v5, v3, vcc_lo
	v_mov_b32_e32 v3, v8
	global_store_dwordx2 v[4:5], v[7:8], off
	s_waitcnt_vscnt null, 0x0
	global_atomic_cmpswap_x2 v[2:3], v6, v[0:3], s[26:27] offset:24 glc
	s_waitcnt vmcnt(0)
	v_cmp_ne_u64_e32 vcc_lo, v[2:3], v[7:8]
	s_and_b32 exec_lo, exec_lo, vcc_lo
	s_cbranch_execz .LBB3_403
; %bb.401:
	s_mov_b32 s4, 0
.LBB3_402:                              ; =>This Inner Loop Header: Depth=1
	s_sleep 1
	global_store_dwordx2 v[4:5], v[2:3], off
	s_waitcnt_vscnt null, 0x0
	global_atomic_cmpswap_x2 v[7:8], v6, v[0:3], s[26:27] offset:24 glc
	s_waitcnt vmcnt(0)
	v_cmp_eq_u64_e32 vcc_lo, v[7:8], v[2:3]
	v_mov_b32_e32 v2, v7
	v_mov_b32_e32 v3, v8
	s_or_b32 s4, vcc_lo, s4
	s_andn2_b32 exec_lo, exec_lo, s4
	s_cbranch_execnz .LBB3_402
.LBB3_403:
	s_or_b32 exec_lo, exec_lo, s5
	v_readfirstlane_b32 s4, v39
	v_mov_b32_e32 v6, 0
	v_mov_b32_e32 v7, 0
	v_cmp_eq_u32_e64 s4, s4, v39
	s_and_saveexec_b32 s5, s4
	s_cbranch_execz .LBB3_409
; %bb.404:
	v_mov_b32_e32 v0, 0
	s_mov_b32 s6, exec_lo
	global_load_dwordx2 v[3:4], v0, s[26:27] offset:24 glc dlc
	s_waitcnt vmcnt(0)
	buffer_gl1_inv
	buffer_gl0_inv
	s_clause 0x1
	global_load_dwordx2 v[1:2], v0, s[26:27] offset:40
	global_load_dwordx2 v[5:6], v0, s[26:27]
	s_waitcnt vmcnt(1)
	v_and_b32_e32 v2, v2, v4
	v_and_b32_e32 v1, v1, v3
	v_mul_lo_u32 v2, v2, 24
	v_mul_hi_u32 v7, v1, 24
	v_mul_lo_u32 v1, v1, 24
	v_add_nc_u32_e32 v2, v7, v2
	s_waitcnt vmcnt(0)
	v_add_co_u32 v1, vcc_lo, v5, v1
	v_add_co_ci_u32_e32 v2, vcc_lo, v6, v2, vcc_lo
	global_load_dwordx2 v[1:2], v[1:2], off glc dlc
	s_waitcnt vmcnt(0)
	global_atomic_cmpswap_x2 v[6:7], v0, v[1:4], s[26:27] offset:24 glc
	s_waitcnt vmcnt(0)
	buffer_gl1_inv
	buffer_gl0_inv
	v_cmpx_ne_u64_e64 v[6:7], v[3:4]
	s_cbranch_execz .LBB3_408
; %bb.405:
	s_mov_b32 s7, 0
	.p2align	6
.LBB3_406:                              ; =>This Inner Loop Header: Depth=1
	s_sleep 1
	s_clause 0x1
	global_load_dwordx2 v[1:2], v0, s[26:27] offset:40
	global_load_dwordx2 v[8:9], v0, s[26:27]
	v_mov_b32_e32 v3, v6
	v_mov_b32_e32 v4, v7
	s_waitcnt vmcnt(1)
	v_and_b32_e32 v1, v1, v3
	v_and_b32_e32 v2, v2, v4
	s_waitcnt vmcnt(0)
	v_mad_u64_u32 v[5:6], null, v1, 24, v[8:9]
	v_mov_b32_e32 v1, v6
	v_mad_u64_u32 v[1:2], null, v2, 24, v[1:2]
	v_mov_b32_e32 v6, v1
	global_load_dwordx2 v[1:2], v[5:6], off glc dlc
	s_waitcnt vmcnt(0)
	global_atomic_cmpswap_x2 v[6:7], v0, v[1:4], s[26:27] offset:24 glc
	s_waitcnt vmcnt(0)
	buffer_gl1_inv
	buffer_gl0_inv
	v_cmp_eq_u64_e32 vcc_lo, v[6:7], v[3:4]
	s_or_b32 s7, vcc_lo, s7
	s_andn2_b32 exec_lo, exec_lo, s7
	s_cbranch_execnz .LBB3_406
; %bb.407:
	s_or_b32 exec_lo, exec_lo, s7
.LBB3_408:
	s_or_b32 exec_lo, exec_lo, s6
.LBB3_409:
	s_or_b32 exec_lo, exec_lo, s5
	v_mov_b32_e32 v5, 0
	v_readfirstlane_b32 s6, v6
	v_readfirstlane_b32 s7, v7
	s_mov_b32 s5, exec_lo
	s_clause 0x1
	global_load_dwordx2 v[8:9], v5, s[26:27] offset:40
	global_load_dwordx4 v[0:3], v5, s[26:27]
	s_waitcnt vmcnt(1)
	v_readfirstlane_b32 s10, v8
	v_readfirstlane_b32 s11, v9
	s_and_b64 s[10:11], s[6:7], s[10:11]
	s_mul_i32 s16, s11, 24
	s_mul_hi_u32 s17, s10, 24
	s_mul_i32 s18, s10, 24
	s_add_i32 s17, s17, s16
	s_waitcnt vmcnt(0)
	v_add_co_u32 v8, vcc_lo, v0, s18
	v_add_co_ci_u32_e32 v9, vcc_lo, s17, v1, vcc_lo
	s_and_saveexec_b32 s16, s4
	s_cbranch_execz .LBB3_411
; %bb.410:
	v_mov_b32_e32 v4, s5
	v_mov_b32_e32 v6, 2
	;; [unrolled: 1-line block ×3, first 2 shown]
	global_store_dwordx4 v[8:9], v[4:7], off offset:8
.LBB3_411:
	s_or_b32 exec_lo, exec_lo, s16
	s_lshl_b64 s[10:11], s[10:11], 12
	s_mov_b32 s16, 0
	v_add_co_u32 v2, vcc_lo, v2, s10
	v_add_co_ci_u32_e32 v3, vcc_lo, s11, v3, vcc_lo
	s_mov_b32 s17, s16
	v_add_co_u32 v10, vcc_lo, v2, v38
	s_mov_b32 s18, s16
	s_mov_b32 s19, s16
	v_mov_b32_e32 v4, 33
	v_mov_b32_e32 v6, v5
	;; [unrolled: 1-line block ×3, first 2 shown]
	v_readfirstlane_b32 s10, v2
	v_readfirstlane_b32 s11, v3
	v_mov_b32_e32 v12, s16
	v_add_co_ci_u32_e32 v11, vcc_lo, 0, v3, vcc_lo
	v_mov_b32_e32 v13, s17
	v_mov_b32_e32 v14, s18
	;; [unrolled: 1-line block ×3, first 2 shown]
	global_store_dwordx4 v38, v[4:7], s[10:11]
	global_store_dwordx4 v38, v[12:15], s[10:11] offset:16
	global_store_dwordx4 v38, v[12:15], s[10:11] offset:32
	global_store_dwordx4 v38, v[12:15], s[10:11] offset:48
	s_and_saveexec_b32 s5, s4
	s_cbranch_execz .LBB3_419
; %bb.412:
	v_mov_b32_e32 v6, 0
	v_mov_b32_e32 v12, s6
	;; [unrolled: 1-line block ×3, first 2 shown]
	s_clause 0x1
	global_load_dwordx2 v[14:15], v6, s[26:27] offset:32 glc dlc
	global_load_dwordx2 v[2:3], v6, s[26:27] offset:40
	s_waitcnt vmcnt(0)
	v_readfirstlane_b32 s10, v2
	v_readfirstlane_b32 s11, v3
	s_and_b64 s[10:11], s[10:11], s[6:7]
	s_mul_i32 s11, s11, 24
	s_mul_hi_u32 s16, s10, 24
	s_mul_i32 s10, s10, 24
	s_add_i32 s16, s16, s11
	v_add_co_u32 v4, vcc_lo, v0, s10
	v_add_co_ci_u32_e32 v5, vcc_lo, s16, v1, vcc_lo
	s_mov_b32 s10, exec_lo
	global_store_dwordx2 v[4:5], v[14:15], off
	s_waitcnt_vscnt null, 0x0
	global_atomic_cmpswap_x2 v[2:3], v6, v[12:15], s[26:27] offset:32 glc
	s_waitcnt vmcnt(0)
	v_cmpx_ne_u64_e64 v[2:3], v[14:15]
	s_cbranch_execz .LBB3_415
; %bb.413:
	s_mov_b32 s11, 0
.LBB3_414:                              ; =>This Inner Loop Header: Depth=1
	v_mov_b32_e32 v0, s6
	v_mov_b32_e32 v1, s7
	s_sleep 1
	global_store_dwordx2 v[4:5], v[2:3], off
	s_waitcnt_vscnt null, 0x0
	global_atomic_cmpswap_x2 v[0:1], v6, v[0:3], s[26:27] offset:32 glc
	s_waitcnt vmcnt(0)
	v_cmp_eq_u64_e32 vcc_lo, v[0:1], v[2:3]
	v_mov_b32_e32 v3, v1
	v_mov_b32_e32 v2, v0
	s_or_b32 s11, vcc_lo, s11
	s_andn2_b32 exec_lo, exec_lo, s11
	s_cbranch_execnz .LBB3_414
.LBB3_415:
	s_or_b32 exec_lo, exec_lo, s10
	v_mov_b32_e32 v3, 0
	s_mov_b32 s11, exec_lo
	s_mov_b32 s10, exec_lo
	v_mbcnt_lo_u32_b32 v2, s11, 0
	global_load_dwordx2 v[0:1], v3, s[26:27] offset:16
	v_cmpx_eq_u32_e32 0, v2
	s_cbranch_execz .LBB3_417
; %bb.416:
	s_bcnt1_i32_b32 s11, s11
	v_mov_b32_e32 v2, s11
	s_waitcnt vmcnt(0)
	global_atomic_add_x2 v[0:1], v[2:3], off offset:8
.LBB3_417:
	s_or_b32 exec_lo, exec_lo, s10
	s_waitcnt vmcnt(0)
	global_load_dwordx2 v[2:3], v[0:1], off offset:16
	s_waitcnt vmcnt(0)
	v_cmp_eq_u64_e32 vcc_lo, 0, v[2:3]
	s_cbranch_vccnz .LBB3_419
; %bb.418:
	global_load_dword v0, v[0:1], off offset:24
	v_mov_b32_e32 v1, 0
	s_waitcnt vmcnt(0)
	v_and_b32_e32 v4, 0x7fffff, v0
	s_waitcnt_vscnt null, 0x0
	global_store_dwordx2 v[2:3], v[0:1], off
	v_readfirstlane_b32 m0, v4
	s_sendmsg sendmsg(MSG_INTERRUPT)
.LBB3_419:
	s_or_b32 exec_lo, exec_lo, s5
	s_branch .LBB3_423
	.p2align	6
.LBB3_420:                              ;   in Loop: Header=BB3_423 Depth=1
	s_or_b32 exec_lo, exec_lo, s5
	v_readfirstlane_b32 s5, v0
	s_cmp_eq_u32 s5, 0
	s_cbranch_scc1 .LBB3_422
; %bb.421:                              ;   in Loop: Header=BB3_423 Depth=1
	s_sleep 1
	s_cbranch_execnz .LBB3_423
	s_branch .LBB3_425
	.p2align	6
.LBB3_422:
	s_branch .LBB3_425
.LBB3_423:                              ; =>This Inner Loop Header: Depth=1
	v_mov_b32_e32 v0, 1
	s_and_saveexec_b32 s5, s4
	s_cbranch_execz .LBB3_420
; %bb.424:                              ;   in Loop: Header=BB3_423 Depth=1
	global_load_dword v0, v[8:9], off offset:20 glc dlc
	s_waitcnt vmcnt(0)
	buffer_gl1_inv
	buffer_gl0_inv
	v_and_b32_e32 v0, 1, v0
	s_branch .LBB3_420
.LBB3_425:
	global_load_dwordx2 v[4:5], v[10:11], off
	s_and_saveexec_b32 s5, s4
	s_cbranch_execz .LBB3_429
; %bb.426:
	v_mov_b32_e32 v8, 0
	s_clause 0x2
	global_load_dwordx2 v[2:3], v8, s[26:27] offset:40
	global_load_dwordx2 v[9:10], v8, s[26:27] offset:24 glc dlc
	global_load_dwordx2 v[6:7], v8, s[26:27]
	s_waitcnt vmcnt(2)
	v_add_co_u32 v11, vcc_lo, v2, 1
	v_add_co_ci_u32_e32 v12, vcc_lo, 0, v3, vcc_lo
	v_add_co_u32 v0, vcc_lo, v11, s6
	v_add_co_ci_u32_e32 v1, vcc_lo, s7, v12, vcc_lo
	v_cmp_eq_u64_e32 vcc_lo, 0, v[0:1]
	v_cndmask_b32_e32 v1, v1, v12, vcc_lo
	v_cndmask_b32_e32 v0, v0, v11, vcc_lo
	v_and_b32_e32 v3, v1, v3
	v_and_b32_e32 v2, v0, v2
	v_mul_lo_u32 v3, v3, 24
	v_mul_hi_u32 v11, v2, 24
	v_mul_lo_u32 v2, v2, 24
	v_add_nc_u32_e32 v3, v11, v3
	s_waitcnt vmcnt(0)
	v_add_co_u32 v6, vcc_lo, v6, v2
	v_mov_b32_e32 v2, v9
	v_add_co_ci_u32_e32 v7, vcc_lo, v7, v3, vcc_lo
	v_mov_b32_e32 v3, v10
	global_store_dwordx2 v[6:7], v[9:10], off
	s_waitcnt_vscnt null, 0x0
	global_atomic_cmpswap_x2 v[2:3], v8, v[0:3], s[26:27] offset:24 glc
	s_waitcnt vmcnt(0)
	v_cmp_ne_u64_e32 vcc_lo, v[2:3], v[9:10]
	s_and_b32 exec_lo, exec_lo, vcc_lo
	s_cbranch_execz .LBB3_429
; %bb.427:
	s_mov_b32 s4, 0
.LBB3_428:                              ; =>This Inner Loop Header: Depth=1
	s_sleep 1
	global_store_dwordx2 v[6:7], v[2:3], off
	s_waitcnt_vscnt null, 0x0
	global_atomic_cmpswap_x2 v[9:10], v8, v[0:3], s[26:27] offset:24 glc
	s_waitcnt vmcnt(0)
	v_cmp_eq_u64_e32 vcc_lo, v[9:10], v[2:3]
	v_mov_b32_e32 v2, v9
	v_mov_b32_e32 v3, v10
	s_or_b32 s4, vcc_lo, s4
	s_andn2_b32 exec_lo, exec_lo, s4
	s_cbranch_execnz .LBB3_428
.LBB3_429:
	s_or_b32 exec_lo, exec_lo, s5
	s_and_b32 vcc_lo, exec_lo, s15
	s_cbranch_vccz .LBB3_508
; %bb.430:
	s_waitcnt vmcnt(0)
	v_and_b32_e32 v28, 2, v4
	v_mov_b32_e32 v7, 0
	v_and_b32_e32 v0, -3, v4
	v_mov_b32_e32 v1, v5
	v_mov_b32_e32 v8, 2
	;; [unrolled: 1-line block ×3, first 2 shown]
	s_mov_b64 s[10:11], 3
	s_getpc_b64 s[6:7]
	s_add_u32 s6, s6, .str.5@rel32@lo+4
	s_addc_u32 s7, s7, .str.5@rel32@hi+12
	s_branch .LBB3_432
.LBB3_431:                              ;   in Loop: Header=BB3_432 Depth=1
	s_or_b32 exec_lo, exec_lo, s5
	s_sub_u32 s10, s10, s16
	s_subb_u32 s11, s11, s17
	s_add_u32 s6, s6, s16
	s_addc_u32 s7, s7, s17
	s_cmp_lg_u64 s[10:11], 0
	s_cbranch_scc0 .LBB3_507
.LBB3_432:                              ; =>This Loop Header: Depth=1
                                        ;     Child Loop BB3_441 Depth 2
                                        ;     Child Loop BB3_437 Depth 2
	;; [unrolled: 1-line block ×11, first 2 shown]
	v_cmp_lt_u64_e64 s4, s[10:11], 56
	v_cmp_gt_u64_e64 s5, s[10:11], 7
                                        ; implicit-def: $vgpr2_vgpr3
                                        ; implicit-def: $sgpr23
	s_and_b32 s4, s4, exec_lo
	s_cselect_b32 s17, s11, 0
	s_cselect_b32 s16, s10, 56
	s_and_b32 vcc_lo, exec_lo, s5
	s_mov_b32 s4, -1
	s_cbranch_vccz .LBB3_439
; %bb.433:                              ;   in Loop: Header=BB3_432 Depth=1
	s_andn2_b32 vcc_lo, exec_lo, s4
	s_mov_b64 s[4:5], s[6:7]
	s_cbranch_vccz .LBB3_443
.LBB3_434:                              ;   in Loop: Header=BB3_432 Depth=1
	s_cmp_gt_u32 s23, 7
	s_cbranch_scc1 .LBB3_444
.LBB3_435:                              ;   in Loop: Header=BB3_432 Depth=1
	v_mov_b32_e32 v10, 0
	v_mov_b32_e32 v11, 0
	s_cmp_eq_u32 s23, 0
	s_cbranch_scc1 .LBB3_438
; %bb.436:                              ;   in Loop: Header=BB3_432 Depth=1
	s_mov_b64 s[18:19], 0
	s_mov_b64 s[20:21], 0
.LBB3_437:                              ;   Parent Loop BB3_432 Depth=1
                                        ; =>  This Inner Loop Header: Depth=2
	s_add_u32 s24, s4, s20
	s_addc_u32 s25, s5, s21
	s_add_u32 s20, s20, 1
	global_load_ubyte v6, v7, s[24:25]
	s_addc_u32 s21, s21, 0
	s_waitcnt vmcnt(0)
	v_and_b32_e32 v6, 0xffff, v6
	v_lshlrev_b64 v[12:13], s18, v[6:7]
	s_add_u32 s18, s18, 8
	s_addc_u32 s19, s19, 0
	s_cmp_lg_u32 s23, s20
	v_or_b32_e32 v10, v12, v10
	v_or_b32_e32 v11, v13, v11
	s_cbranch_scc1 .LBB3_437
.LBB3_438:                              ;   in Loop: Header=BB3_432 Depth=1
	s_mov_b32 s24, 0
	s_cbranch_execz .LBB3_445
	s_branch .LBB3_446
.LBB3_439:                              ;   in Loop: Header=BB3_432 Depth=1
	s_waitcnt vmcnt(0)
	v_mov_b32_e32 v2, 0
	v_mov_b32_e32 v3, 0
	s_cmp_eq_u64 s[10:11], 0
	s_mov_b64 s[4:5], 0
	s_cbranch_scc1 .LBB3_442
; %bb.440:                              ;   in Loop: Header=BB3_432 Depth=1
	v_mov_b32_e32 v2, 0
	v_mov_b32_e32 v3, 0
	s_lshl_b64 s[18:19], s[16:17], 3
	s_mov_b64 s[20:21], s[6:7]
.LBB3_441:                              ;   Parent Loop BB3_432 Depth=1
                                        ; =>  This Inner Loop Header: Depth=2
	global_load_ubyte v6, v7, s[20:21]
	s_waitcnt vmcnt(0)
	v_and_b32_e32 v6, 0xffff, v6
	v_lshlrev_b64 v[10:11], s4, v[6:7]
	s_add_u32 s4, s4, 8
	s_addc_u32 s5, s5, 0
	s_add_u32 s20, s20, 1
	s_addc_u32 s21, s21, 0
	s_cmp_lg_u32 s18, s4
	v_or_b32_e32 v2, v10, v2
	v_or_b32_e32 v3, v11, v3
	s_cbranch_scc1 .LBB3_441
.LBB3_442:                              ;   in Loop: Header=BB3_432 Depth=1
	s_mov_b32 s23, 0
	s_mov_b64 s[4:5], s[6:7]
	s_cbranch_execnz .LBB3_434
.LBB3_443:                              ;   in Loop: Header=BB3_432 Depth=1
	global_load_dwordx2 v[2:3], v7, s[6:7]
	s_add_i32 s23, s16, -8
	s_add_u32 s4, s6, 8
	s_addc_u32 s5, s7, 0
	s_cmp_gt_u32 s23, 7
	s_cbranch_scc0 .LBB3_435
.LBB3_444:                              ;   in Loop: Header=BB3_432 Depth=1
                                        ; implicit-def: $vgpr10_vgpr11
                                        ; implicit-def: $sgpr24
.LBB3_445:                              ;   in Loop: Header=BB3_432 Depth=1
	global_load_dwordx2 v[10:11], v7, s[4:5]
	s_add_i32 s24, s23, -8
	s_add_u32 s4, s4, 8
	s_addc_u32 s5, s5, 0
.LBB3_446:                              ;   in Loop: Header=BB3_432 Depth=1
	s_cmp_gt_u32 s24, 7
	s_cbranch_scc1 .LBB3_451
; %bb.447:                              ;   in Loop: Header=BB3_432 Depth=1
	v_mov_b32_e32 v12, 0
	v_mov_b32_e32 v13, 0
	s_cmp_eq_u32 s24, 0
	s_cbranch_scc1 .LBB3_450
; %bb.448:                              ;   in Loop: Header=BB3_432 Depth=1
	s_mov_b64 s[18:19], 0
	s_mov_b64 s[20:21], 0
.LBB3_449:                              ;   Parent Loop BB3_432 Depth=1
                                        ; =>  This Inner Loop Header: Depth=2
	s_add_u32 vcc_lo, s4, s20
	s_addc_u32 vcc_hi, s5, s21
	s_add_u32 s20, s20, 1
	global_load_ubyte v6, v7, vcc
	s_addc_u32 s21, s21, 0
	s_waitcnt vmcnt(0)
	v_and_b32_e32 v6, 0xffff, v6
	v_lshlrev_b64 v[14:15], s18, v[6:7]
	s_add_u32 s18, s18, 8
	s_addc_u32 s19, s19, 0
	s_cmp_lg_u32 s24, s20
	v_or_b32_e32 v12, v14, v12
	v_or_b32_e32 v13, v15, v13
	s_cbranch_scc1 .LBB3_449
.LBB3_450:                              ;   in Loop: Header=BB3_432 Depth=1
	s_mov_b32 s23, 0
	s_cbranch_execz .LBB3_452
	s_branch .LBB3_453
.LBB3_451:                              ;   in Loop: Header=BB3_432 Depth=1
                                        ; implicit-def: $sgpr23
.LBB3_452:                              ;   in Loop: Header=BB3_432 Depth=1
	global_load_dwordx2 v[12:13], v7, s[4:5]
	s_add_i32 s23, s24, -8
	s_add_u32 s4, s4, 8
	s_addc_u32 s5, s5, 0
.LBB3_453:                              ;   in Loop: Header=BB3_432 Depth=1
	s_cmp_gt_u32 s23, 7
	s_cbranch_scc1 .LBB3_458
; %bb.454:                              ;   in Loop: Header=BB3_432 Depth=1
	v_mov_b32_e32 v14, 0
	v_mov_b32_e32 v15, 0
	s_cmp_eq_u32 s23, 0
	s_cbranch_scc1 .LBB3_457
; %bb.455:                              ;   in Loop: Header=BB3_432 Depth=1
	s_mov_b64 s[18:19], 0
	s_mov_b64 s[20:21], 0
.LBB3_456:                              ;   Parent Loop BB3_432 Depth=1
                                        ; =>  This Inner Loop Header: Depth=2
	s_add_u32 s24, s4, s20
	s_addc_u32 s25, s5, s21
	s_add_u32 s20, s20, 1
	global_load_ubyte v6, v7, s[24:25]
	s_addc_u32 s21, s21, 0
	s_waitcnt vmcnt(0)
	v_and_b32_e32 v6, 0xffff, v6
	v_lshlrev_b64 v[16:17], s18, v[6:7]
	s_add_u32 s18, s18, 8
	s_addc_u32 s19, s19, 0
	s_cmp_lg_u32 s23, s20
	v_or_b32_e32 v14, v16, v14
	v_or_b32_e32 v15, v17, v15
	s_cbranch_scc1 .LBB3_456
.LBB3_457:                              ;   in Loop: Header=BB3_432 Depth=1
	s_mov_b32 s24, 0
	s_cbranch_execz .LBB3_459
	s_branch .LBB3_460
.LBB3_458:                              ;   in Loop: Header=BB3_432 Depth=1
                                        ; implicit-def: $vgpr14_vgpr15
                                        ; implicit-def: $sgpr24
.LBB3_459:                              ;   in Loop: Header=BB3_432 Depth=1
	global_load_dwordx2 v[14:15], v7, s[4:5]
	s_add_i32 s24, s23, -8
	s_add_u32 s4, s4, 8
	s_addc_u32 s5, s5, 0
.LBB3_460:                              ;   in Loop: Header=BB3_432 Depth=1
	s_cmp_gt_u32 s24, 7
	s_cbranch_scc1 .LBB3_465
; %bb.461:                              ;   in Loop: Header=BB3_432 Depth=1
	v_mov_b32_e32 v16, 0
	v_mov_b32_e32 v17, 0
	s_cmp_eq_u32 s24, 0
	s_cbranch_scc1 .LBB3_464
; %bb.462:                              ;   in Loop: Header=BB3_432 Depth=1
	s_mov_b64 s[18:19], 0
	s_mov_b64 s[20:21], 0
.LBB3_463:                              ;   Parent Loop BB3_432 Depth=1
                                        ; =>  This Inner Loop Header: Depth=2
	s_add_u32 vcc_lo, s4, s20
	s_addc_u32 vcc_hi, s5, s21
	s_add_u32 s20, s20, 1
	global_load_ubyte v6, v7, vcc
	s_addc_u32 s21, s21, 0
	s_waitcnt vmcnt(0)
	v_and_b32_e32 v6, 0xffff, v6
	v_lshlrev_b64 v[18:19], s18, v[6:7]
	s_add_u32 s18, s18, 8
	s_addc_u32 s19, s19, 0
	s_cmp_lg_u32 s24, s20
	v_or_b32_e32 v16, v18, v16
	v_or_b32_e32 v17, v19, v17
	s_cbranch_scc1 .LBB3_463
.LBB3_464:                              ;   in Loop: Header=BB3_432 Depth=1
	s_mov_b32 s23, 0
	s_cbranch_execz .LBB3_466
	s_branch .LBB3_467
.LBB3_465:                              ;   in Loop: Header=BB3_432 Depth=1
                                        ; implicit-def: $sgpr23
.LBB3_466:                              ;   in Loop: Header=BB3_432 Depth=1
	global_load_dwordx2 v[16:17], v7, s[4:5]
	s_add_i32 s23, s24, -8
	s_add_u32 s4, s4, 8
	s_addc_u32 s5, s5, 0
.LBB3_467:                              ;   in Loop: Header=BB3_432 Depth=1
	s_cmp_gt_u32 s23, 7
	s_cbranch_scc1 .LBB3_472
; %bb.468:                              ;   in Loop: Header=BB3_432 Depth=1
	v_mov_b32_e32 v18, 0
	v_mov_b32_e32 v19, 0
	s_cmp_eq_u32 s23, 0
	s_cbranch_scc1 .LBB3_471
; %bb.469:                              ;   in Loop: Header=BB3_432 Depth=1
	s_mov_b64 s[18:19], 0
	s_mov_b64 s[20:21], 0
.LBB3_470:                              ;   Parent Loop BB3_432 Depth=1
                                        ; =>  This Inner Loop Header: Depth=2
	s_add_u32 s24, s4, s20
	s_addc_u32 s25, s5, s21
	s_add_u32 s20, s20, 1
	global_load_ubyte v6, v7, s[24:25]
	s_addc_u32 s21, s21, 0
	s_waitcnt vmcnt(0)
	v_and_b32_e32 v6, 0xffff, v6
	v_lshlrev_b64 v[20:21], s18, v[6:7]
	s_add_u32 s18, s18, 8
	s_addc_u32 s19, s19, 0
	s_cmp_lg_u32 s23, s20
	v_or_b32_e32 v18, v20, v18
	v_or_b32_e32 v19, v21, v19
	s_cbranch_scc1 .LBB3_470
.LBB3_471:                              ;   in Loop: Header=BB3_432 Depth=1
	s_mov_b32 s24, 0
	s_cbranch_execz .LBB3_473
	s_branch .LBB3_474
.LBB3_472:                              ;   in Loop: Header=BB3_432 Depth=1
                                        ; implicit-def: $vgpr18_vgpr19
                                        ; implicit-def: $sgpr24
.LBB3_473:                              ;   in Loop: Header=BB3_432 Depth=1
	global_load_dwordx2 v[18:19], v7, s[4:5]
	s_add_i32 s24, s23, -8
	s_add_u32 s4, s4, 8
	s_addc_u32 s5, s5, 0
.LBB3_474:                              ;   in Loop: Header=BB3_432 Depth=1
	s_cmp_gt_u32 s24, 7
	s_cbranch_scc1 .LBB3_479
; %bb.475:                              ;   in Loop: Header=BB3_432 Depth=1
	v_mov_b32_e32 v20, 0
	v_mov_b32_e32 v21, 0
	s_cmp_eq_u32 s24, 0
	s_cbranch_scc1 .LBB3_478
; %bb.476:                              ;   in Loop: Header=BB3_432 Depth=1
	s_mov_b64 s[18:19], 0
	s_mov_b64 s[20:21], s[4:5]
.LBB3_477:                              ;   Parent Loop BB3_432 Depth=1
                                        ; =>  This Inner Loop Header: Depth=2
	global_load_ubyte v6, v7, s[20:21]
	s_add_i32 s24, s24, -1
	s_waitcnt vmcnt(0)
	v_and_b32_e32 v6, 0xffff, v6
	v_lshlrev_b64 v[22:23], s18, v[6:7]
	s_add_u32 s18, s18, 8
	s_addc_u32 s19, s19, 0
	s_add_u32 s20, s20, 1
	s_addc_u32 s21, s21, 0
	s_cmp_lg_u32 s24, 0
	v_or_b32_e32 v20, v22, v20
	v_or_b32_e32 v21, v23, v21
	s_cbranch_scc1 .LBB3_477
.LBB3_478:                              ;   in Loop: Header=BB3_432 Depth=1
	s_cbranch_execz .LBB3_480
	s_branch .LBB3_481
.LBB3_479:                              ;   in Loop: Header=BB3_432 Depth=1
.LBB3_480:                              ;   in Loop: Header=BB3_432 Depth=1
	global_load_dwordx2 v[20:21], v7, s[4:5]
.LBB3_481:                              ;   in Loop: Header=BB3_432 Depth=1
	v_readfirstlane_b32 s4, v39
	v_mov_b32_e32 v26, 0
	v_mov_b32_e32 v27, 0
	v_cmp_eq_u32_e64 s4, s4, v39
	s_and_saveexec_b32 s5, s4
	s_cbranch_execz .LBB3_487
; %bb.482:                              ;   in Loop: Header=BB3_432 Depth=1
	global_load_dwordx2 v[24:25], v7, s[26:27] offset:24 glc dlc
	s_waitcnt vmcnt(0)
	buffer_gl1_inv
	buffer_gl0_inv
	s_clause 0x1
	global_load_dwordx2 v[22:23], v7, s[26:27] offset:40
	global_load_dwordx2 v[26:27], v7, s[26:27]
	s_mov_b32 s18, exec_lo
	s_waitcnt vmcnt(1)
	v_and_b32_e32 v6, v23, v25
	v_and_b32_e32 v22, v22, v24
	v_mul_lo_u32 v6, v6, 24
	v_mul_hi_u32 v23, v22, 24
	v_mul_lo_u32 v22, v22, 24
	v_add_nc_u32_e32 v6, v23, v6
	s_waitcnt vmcnt(0)
	v_add_co_u32 v22, vcc_lo, v26, v22
	v_add_co_ci_u32_e32 v23, vcc_lo, v27, v6, vcc_lo
	global_load_dwordx2 v[22:23], v[22:23], off glc dlc
	s_waitcnt vmcnt(0)
	global_atomic_cmpswap_x2 v[26:27], v7, v[22:25], s[26:27] offset:24 glc
	s_waitcnt vmcnt(0)
	buffer_gl1_inv
	buffer_gl0_inv
	v_cmpx_ne_u64_e64 v[26:27], v[24:25]
	s_cbranch_execz .LBB3_486
; %bb.483:                              ;   in Loop: Header=BB3_432 Depth=1
	s_mov_b32 s19, 0
	.p2align	6
.LBB3_484:                              ;   Parent Loop BB3_432 Depth=1
                                        ; =>  This Inner Loop Header: Depth=2
	s_sleep 1
	s_clause 0x1
	global_load_dwordx2 v[22:23], v7, s[26:27] offset:40
	global_load_dwordx2 v[29:30], v7, s[26:27]
	v_mov_b32_e32 v24, v26
	v_mov_b32_e32 v25, v27
	s_waitcnt vmcnt(1)
	v_and_b32_e32 v6, v22, v24
	v_and_b32_e32 v22, v23, v25
	s_waitcnt vmcnt(0)
	v_mad_u64_u32 v[26:27], null, v6, 24, v[29:30]
	v_mov_b32_e32 v6, v27
	v_mad_u64_u32 v[22:23], null, v22, 24, v[6:7]
	v_mov_b32_e32 v27, v22
	global_load_dwordx2 v[22:23], v[26:27], off glc dlc
	s_waitcnt vmcnt(0)
	global_atomic_cmpswap_x2 v[26:27], v7, v[22:25], s[26:27] offset:24 glc
	s_waitcnt vmcnt(0)
	buffer_gl1_inv
	buffer_gl0_inv
	v_cmp_eq_u64_e32 vcc_lo, v[26:27], v[24:25]
	s_or_b32 s19, vcc_lo, s19
	s_andn2_b32 exec_lo, exec_lo, s19
	s_cbranch_execnz .LBB3_484
; %bb.485:                              ;   in Loop: Header=BB3_432 Depth=1
	s_or_b32 exec_lo, exec_lo, s19
.LBB3_486:                              ;   in Loop: Header=BB3_432 Depth=1
	s_or_b32 exec_lo, exec_lo, s18
.LBB3_487:                              ;   in Loop: Header=BB3_432 Depth=1
	s_or_b32 exec_lo, exec_lo, s5
	s_clause 0x1
	global_load_dwordx2 v[29:30], v7, s[26:27] offset:40
	global_load_dwordx4 v[22:25], v7, s[26:27]
	v_readfirstlane_b32 s18, v26
	v_readfirstlane_b32 s19, v27
	s_mov_b32 s5, exec_lo
	s_waitcnt vmcnt(1)
	v_readfirstlane_b32 s20, v29
	v_readfirstlane_b32 s21, v30
	s_and_b64 s[20:21], s[18:19], s[20:21]
	s_mul_i32 s23, s21, 24
	s_mul_hi_u32 s24, s20, 24
	s_mul_i32 s25, s20, 24
	s_add_i32 s24, s24, s23
	s_waitcnt vmcnt(0)
	v_add_co_u32 v26, vcc_lo, v22, s25
	v_add_co_ci_u32_e32 v27, vcc_lo, s24, v23, vcc_lo
	s_and_saveexec_b32 s23, s4
	s_cbranch_execz .LBB3_489
; %bb.488:                              ;   in Loop: Header=BB3_432 Depth=1
	v_mov_b32_e32 v6, s5
	global_store_dwordx4 v[26:27], v[6:9], off offset:8
.LBB3_489:                              ;   in Loop: Header=BB3_432 Depth=1
	s_or_b32 exec_lo, exec_lo, s23
	s_lshl_b64 s[20:21], s[20:21], 12
	v_cmp_gt_u64_e64 vcc_lo, s[10:11], 56
	v_or_b32_e32 v29, v0, v28
	v_add_co_u32 v24, s5, v24, s20
	v_add_co_ci_u32_e64 v25, s5, s21, v25, s5
	s_lshl_b32 s5, s16, 2
	v_or_b32_e32 v6, 0, v1
	v_cndmask_b32_e32 v0, v29, v0, vcc_lo
	s_add_i32 s5, s5, 28
	v_readfirstlane_b32 s20, v24
	s_and_b32 s5, s5, 0x1e0
	v_cndmask_b32_e32 v1, v6, v1, vcc_lo
	v_readfirstlane_b32 s21, v25
	v_and_or_b32 v0, 0xffffff1f, v0, s5
	global_store_dwordx4 v38, v[0:3], s[20:21]
	global_store_dwordx4 v38, v[10:13], s[20:21] offset:16
	global_store_dwordx4 v38, v[14:17], s[20:21] offset:32
	;; [unrolled: 1-line block ×3, first 2 shown]
	s_and_saveexec_b32 s5, s4
	s_cbranch_execz .LBB3_497
; %bb.490:                              ;   in Loop: Header=BB3_432 Depth=1
	s_clause 0x1
	global_load_dwordx2 v[14:15], v7, s[26:27] offset:32 glc dlc
	global_load_dwordx2 v[0:1], v7, s[26:27] offset:40
	v_mov_b32_e32 v12, s18
	v_mov_b32_e32 v13, s19
	s_waitcnt vmcnt(0)
	v_readfirstlane_b32 s20, v0
	v_readfirstlane_b32 s21, v1
	s_and_b64 s[20:21], s[20:21], s[18:19]
	s_mul_i32 s21, s21, 24
	s_mul_hi_u32 s23, s20, 24
	s_mul_i32 s20, s20, 24
	s_add_i32 s23, s23, s21
	v_add_co_u32 v10, vcc_lo, v22, s20
	v_add_co_ci_u32_e32 v11, vcc_lo, s23, v23, vcc_lo
	s_mov_b32 s20, exec_lo
	global_store_dwordx2 v[10:11], v[14:15], off
	s_waitcnt_vscnt null, 0x0
	global_atomic_cmpswap_x2 v[2:3], v7, v[12:15], s[26:27] offset:32 glc
	s_waitcnt vmcnt(0)
	v_cmpx_ne_u64_e64 v[2:3], v[14:15]
	s_cbranch_execz .LBB3_493
; %bb.491:                              ;   in Loop: Header=BB3_432 Depth=1
	s_mov_b32 s21, 0
.LBB3_492:                              ;   Parent Loop BB3_432 Depth=1
                                        ; =>  This Inner Loop Header: Depth=2
	v_mov_b32_e32 v0, s18
	v_mov_b32_e32 v1, s19
	s_sleep 1
	global_store_dwordx2 v[10:11], v[2:3], off
	s_waitcnt_vscnt null, 0x0
	global_atomic_cmpswap_x2 v[0:1], v7, v[0:3], s[26:27] offset:32 glc
	s_waitcnt vmcnt(0)
	v_cmp_eq_u64_e32 vcc_lo, v[0:1], v[2:3]
	v_mov_b32_e32 v3, v1
	v_mov_b32_e32 v2, v0
	s_or_b32 s21, vcc_lo, s21
	s_andn2_b32 exec_lo, exec_lo, s21
	s_cbranch_execnz .LBB3_492
.LBB3_493:                              ;   in Loop: Header=BB3_432 Depth=1
	s_or_b32 exec_lo, exec_lo, s20
	global_load_dwordx2 v[0:1], v7, s[26:27] offset:16
	s_mov_b32 s21, exec_lo
	s_mov_b32 s20, exec_lo
	v_mbcnt_lo_u32_b32 v2, s21, 0
	v_cmpx_eq_u32_e32 0, v2
	s_cbranch_execz .LBB3_495
; %bb.494:                              ;   in Loop: Header=BB3_432 Depth=1
	s_bcnt1_i32_b32 s21, s21
	v_mov_b32_e32 v6, s21
	s_waitcnt vmcnt(0)
	global_atomic_add_x2 v[0:1], v[6:7], off offset:8
.LBB3_495:                              ;   in Loop: Header=BB3_432 Depth=1
	s_or_b32 exec_lo, exec_lo, s20
	s_waitcnt vmcnt(0)
	global_load_dwordx2 v[2:3], v[0:1], off offset:16
	s_waitcnt vmcnt(0)
	v_cmp_eq_u64_e32 vcc_lo, 0, v[2:3]
	s_cbranch_vccnz .LBB3_497
; %bb.496:                              ;   in Loop: Header=BB3_432 Depth=1
	global_load_dword v6, v[0:1], off offset:24
	s_waitcnt vmcnt(0)
	v_and_b32_e32 v0, 0x7fffff, v6
	s_waitcnt_vscnt null, 0x0
	global_store_dwordx2 v[2:3], v[6:7], off
	v_readfirstlane_b32 m0, v0
	s_sendmsg sendmsg(MSG_INTERRUPT)
.LBB3_497:                              ;   in Loop: Header=BB3_432 Depth=1
	s_or_b32 exec_lo, exec_lo, s5
	v_add_co_u32 v0, vcc_lo, v24, v38
	v_add_co_ci_u32_e32 v1, vcc_lo, 0, v25, vcc_lo
	s_branch .LBB3_501
	.p2align	6
.LBB3_498:                              ;   in Loop: Header=BB3_501 Depth=2
	s_or_b32 exec_lo, exec_lo, s5
	v_readfirstlane_b32 s5, v2
	s_cmp_eq_u32 s5, 0
	s_cbranch_scc1 .LBB3_500
; %bb.499:                              ;   in Loop: Header=BB3_501 Depth=2
	s_sleep 1
	s_cbranch_execnz .LBB3_501
	s_branch .LBB3_503
	.p2align	6
.LBB3_500:                              ;   in Loop: Header=BB3_432 Depth=1
	s_branch .LBB3_503
.LBB3_501:                              ;   Parent Loop BB3_432 Depth=1
                                        ; =>  This Inner Loop Header: Depth=2
	v_mov_b32_e32 v2, 1
	s_and_saveexec_b32 s5, s4
	s_cbranch_execz .LBB3_498
; %bb.502:                              ;   in Loop: Header=BB3_501 Depth=2
	global_load_dword v2, v[26:27], off offset:20 glc dlc
	s_waitcnt vmcnt(0)
	buffer_gl1_inv
	buffer_gl0_inv
	v_and_b32_e32 v2, 1, v2
	s_branch .LBB3_498
.LBB3_503:                              ;   in Loop: Header=BB3_432 Depth=1
	global_load_dwordx4 v[0:3], v[0:1], off
	s_and_saveexec_b32 s5, s4
	s_cbranch_execz .LBB3_431
; %bb.504:                              ;   in Loop: Header=BB3_432 Depth=1
	s_clause 0x2
	global_load_dwordx2 v[2:3], v7, s[26:27] offset:40
	global_load_dwordx2 v[14:15], v7, s[26:27] offset:24 glc dlc
	global_load_dwordx2 v[12:13], v7, s[26:27]
	s_waitcnt vmcnt(2)
	v_add_co_u32 v6, vcc_lo, v2, 1
	v_add_co_ci_u32_e32 v16, vcc_lo, 0, v3, vcc_lo
	v_add_co_u32 v10, vcc_lo, v6, s18
	v_add_co_ci_u32_e32 v11, vcc_lo, s19, v16, vcc_lo
	v_cmp_eq_u64_e32 vcc_lo, 0, v[10:11]
	v_cndmask_b32_e32 v11, v11, v16, vcc_lo
	v_cndmask_b32_e32 v10, v10, v6, vcc_lo
	v_and_b32_e32 v3, v11, v3
	v_and_b32_e32 v2, v10, v2
	v_mul_lo_u32 v3, v3, 24
	v_mul_hi_u32 v6, v2, 24
	v_mul_lo_u32 v2, v2, 24
	v_add_nc_u32_e32 v3, v6, v3
	s_waitcnt vmcnt(0)
	v_add_co_u32 v2, vcc_lo, v12, v2
	v_mov_b32_e32 v12, v14
	v_add_co_ci_u32_e32 v3, vcc_lo, v13, v3, vcc_lo
	v_mov_b32_e32 v13, v15
	global_store_dwordx2 v[2:3], v[14:15], off
	s_waitcnt_vscnt null, 0x0
	global_atomic_cmpswap_x2 v[12:13], v7, v[10:13], s[26:27] offset:24 glc
	s_waitcnt vmcnt(0)
	v_cmp_ne_u64_e32 vcc_lo, v[12:13], v[14:15]
	s_and_b32 exec_lo, exec_lo, vcc_lo
	s_cbranch_execz .LBB3_431
; %bb.505:                              ;   in Loop: Header=BB3_432 Depth=1
	s_mov_b32 s4, 0
.LBB3_506:                              ;   Parent Loop BB3_432 Depth=1
                                        ; =>  This Inner Loop Header: Depth=2
	s_sleep 1
	global_store_dwordx2 v[2:3], v[12:13], off
	s_waitcnt_vscnt null, 0x0
	global_atomic_cmpswap_x2 v[14:15], v7, v[10:13], s[26:27] offset:24 glc
	s_waitcnt vmcnt(0)
	v_cmp_eq_u64_e32 vcc_lo, v[14:15], v[12:13]
	v_mov_b32_e32 v12, v14
	v_mov_b32_e32 v13, v15
	s_or_b32 s4, vcc_lo, s4
	s_andn2_b32 exec_lo, exec_lo, s4
	s_cbranch_execnz .LBB3_506
	s_branch .LBB3_431
.LBB3_507:
	s_branch .LBB3_536
.LBB3_508:
                                        ; implicit-def: $vgpr0_vgpr1
	s_cbranch_execz .LBB3_536
; %bb.509:
	v_readfirstlane_b32 s4, v39
	v_mov_b32_e32 v7, 0
	v_mov_b32_e32 v8, 0
	v_cmp_eq_u32_e64 s4, s4, v39
	s_and_saveexec_b32 s5, s4
	s_cbranch_execz .LBB3_515
; %bb.510:
	s_waitcnt vmcnt(0)
	v_mov_b32_e32 v0, 0
	s_mov_b32 s6, exec_lo
	global_load_dwordx2 v[9:10], v0, s[26:27] offset:24 glc dlc
	s_waitcnt vmcnt(0)
	buffer_gl1_inv
	buffer_gl0_inv
	s_clause 0x1
	global_load_dwordx2 v[1:2], v0, s[26:27] offset:40
	global_load_dwordx2 v[6:7], v0, s[26:27]
	s_waitcnt vmcnt(1)
	v_and_b32_e32 v2, v2, v10
	v_and_b32_e32 v1, v1, v9
	v_mul_lo_u32 v2, v2, 24
	v_mul_hi_u32 v3, v1, 24
	v_mul_lo_u32 v1, v1, 24
	v_add_nc_u32_e32 v2, v3, v2
	s_waitcnt vmcnt(0)
	v_add_co_u32 v1, vcc_lo, v6, v1
	v_add_co_ci_u32_e32 v2, vcc_lo, v7, v2, vcc_lo
	global_load_dwordx2 v[7:8], v[1:2], off glc dlc
	s_waitcnt vmcnt(0)
	global_atomic_cmpswap_x2 v[7:8], v0, v[7:10], s[26:27] offset:24 glc
	s_waitcnt vmcnt(0)
	buffer_gl1_inv
	buffer_gl0_inv
	v_cmpx_ne_u64_e64 v[7:8], v[9:10]
	s_cbranch_execz .LBB3_514
; %bb.511:
	s_mov_b32 s7, 0
	.p2align	6
.LBB3_512:                              ; =>This Inner Loop Header: Depth=1
	s_sleep 1
	s_clause 0x1
	global_load_dwordx2 v[1:2], v0, s[26:27] offset:40
	global_load_dwordx2 v[11:12], v0, s[26:27]
	v_mov_b32_e32 v10, v8
	v_mov_b32_e32 v9, v7
	s_waitcnt vmcnt(1)
	v_and_b32_e32 v1, v1, v9
	v_and_b32_e32 v2, v2, v10
	s_waitcnt vmcnt(0)
	v_mad_u64_u32 v[6:7], null, v1, 24, v[11:12]
	v_mov_b32_e32 v1, v7
	v_mad_u64_u32 v[1:2], null, v2, 24, v[1:2]
	v_mov_b32_e32 v7, v1
	global_load_dwordx2 v[7:8], v[6:7], off glc dlc
	s_waitcnt vmcnt(0)
	global_atomic_cmpswap_x2 v[7:8], v0, v[7:10], s[26:27] offset:24 glc
	s_waitcnt vmcnt(0)
	buffer_gl1_inv
	buffer_gl0_inv
	v_cmp_eq_u64_e32 vcc_lo, v[7:8], v[9:10]
	s_or_b32 s7, vcc_lo, s7
	s_andn2_b32 exec_lo, exec_lo, s7
	s_cbranch_execnz .LBB3_512
; %bb.513:
	s_or_b32 exec_lo, exec_lo, s7
.LBB3_514:
	s_or_b32 exec_lo, exec_lo, s6
.LBB3_515:
	s_or_b32 exec_lo, exec_lo, s5
	v_mov_b32_e32 v6, 0
	v_readfirstlane_b32 s6, v7
	v_readfirstlane_b32 s7, v8
	s_mov_b32 s5, exec_lo
	s_clause 0x1
	global_load_dwordx2 v[9:10], v6, s[26:27] offset:40
	global_load_dwordx4 v[0:3], v6, s[26:27]
	s_waitcnt vmcnt(1)
	v_readfirstlane_b32 s10, v9
	v_readfirstlane_b32 s11, v10
	s_and_b64 s[10:11], s[6:7], s[10:11]
	s_mul_i32 s16, s11, 24
	s_mul_hi_u32 s17, s10, 24
	s_mul_i32 s18, s10, 24
	s_add_i32 s17, s17, s16
	s_waitcnt vmcnt(0)
	v_add_co_u32 v8, vcc_lo, v0, s18
	v_add_co_ci_u32_e32 v9, vcc_lo, s17, v1, vcc_lo
	s_and_saveexec_b32 s16, s4
	s_cbranch_execz .LBB3_517
; %bb.516:
	v_mov_b32_e32 v10, s5
	v_mov_b32_e32 v11, v6
	;; [unrolled: 1-line block ×4, first 2 shown]
	global_store_dwordx4 v[8:9], v[10:13], off offset:8
.LBB3_517:
	s_or_b32 exec_lo, exec_lo, s16
	s_lshl_b64 s[10:11], s[10:11], 12
	s_mov_b32 s16, 0
	v_add_co_u32 v2, vcc_lo, v2, s10
	v_add_co_ci_u32_e32 v3, vcc_lo, s11, v3, vcc_lo
	s_mov_b32 s17, s16
	v_add_co_u32 v10, vcc_lo, v2, v38
	s_mov_b32 s18, s16
	s_mov_b32 s19, s16
	v_and_or_b32 v4, 0xffffff1f, v4, 32
	v_mov_b32_e32 v7, v6
	v_readfirstlane_b32 s10, v2
	v_readfirstlane_b32 s11, v3
	v_mov_b32_e32 v12, s16
	v_add_co_ci_u32_e32 v11, vcc_lo, 0, v3, vcc_lo
	v_mov_b32_e32 v13, s17
	v_mov_b32_e32 v14, s18
	;; [unrolled: 1-line block ×3, first 2 shown]
	global_store_dwordx4 v38, v[4:7], s[10:11]
	global_store_dwordx4 v38, v[12:15], s[10:11] offset:16
	global_store_dwordx4 v38, v[12:15], s[10:11] offset:32
	;; [unrolled: 1-line block ×3, first 2 shown]
	s_and_saveexec_b32 s5, s4
	s_cbranch_execz .LBB3_525
; %bb.518:
	v_mov_b32_e32 v6, 0
	v_mov_b32_e32 v12, s6
	;; [unrolled: 1-line block ×3, first 2 shown]
	s_clause 0x1
	global_load_dwordx2 v[14:15], v6, s[26:27] offset:32 glc dlc
	global_load_dwordx2 v[2:3], v6, s[26:27] offset:40
	s_waitcnt vmcnt(0)
	v_readfirstlane_b32 s10, v2
	v_readfirstlane_b32 s11, v3
	s_and_b64 s[10:11], s[10:11], s[6:7]
	s_mul_i32 s11, s11, 24
	s_mul_hi_u32 s16, s10, 24
	s_mul_i32 s10, s10, 24
	s_add_i32 s16, s16, s11
	v_add_co_u32 v4, vcc_lo, v0, s10
	v_add_co_ci_u32_e32 v5, vcc_lo, s16, v1, vcc_lo
	s_mov_b32 s10, exec_lo
	global_store_dwordx2 v[4:5], v[14:15], off
	s_waitcnt_vscnt null, 0x0
	global_atomic_cmpswap_x2 v[2:3], v6, v[12:15], s[26:27] offset:32 glc
	s_waitcnt vmcnt(0)
	v_cmpx_ne_u64_e64 v[2:3], v[14:15]
	s_cbranch_execz .LBB3_521
; %bb.519:
	s_mov_b32 s11, 0
.LBB3_520:                              ; =>This Inner Loop Header: Depth=1
	v_mov_b32_e32 v0, s6
	v_mov_b32_e32 v1, s7
	s_sleep 1
	global_store_dwordx2 v[4:5], v[2:3], off
	s_waitcnt_vscnt null, 0x0
	global_atomic_cmpswap_x2 v[0:1], v6, v[0:3], s[26:27] offset:32 glc
	s_waitcnt vmcnt(0)
	v_cmp_eq_u64_e32 vcc_lo, v[0:1], v[2:3]
	v_mov_b32_e32 v3, v1
	v_mov_b32_e32 v2, v0
	s_or_b32 s11, vcc_lo, s11
	s_andn2_b32 exec_lo, exec_lo, s11
	s_cbranch_execnz .LBB3_520
.LBB3_521:
	s_or_b32 exec_lo, exec_lo, s10
	v_mov_b32_e32 v3, 0
	s_mov_b32 s11, exec_lo
	s_mov_b32 s10, exec_lo
	v_mbcnt_lo_u32_b32 v2, s11, 0
	global_load_dwordx2 v[0:1], v3, s[26:27] offset:16
	v_cmpx_eq_u32_e32 0, v2
	s_cbranch_execz .LBB3_523
; %bb.522:
	s_bcnt1_i32_b32 s11, s11
	v_mov_b32_e32 v2, s11
	s_waitcnt vmcnt(0)
	global_atomic_add_x2 v[0:1], v[2:3], off offset:8
.LBB3_523:
	s_or_b32 exec_lo, exec_lo, s10
	s_waitcnt vmcnt(0)
	global_load_dwordx2 v[2:3], v[0:1], off offset:16
	s_waitcnt vmcnt(0)
	v_cmp_eq_u64_e32 vcc_lo, 0, v[2:3]
	s_cbranch_vccnz .LBB3_525
; %bb.524:
	global_load_dword v0, v[0:1], off offset:24
	v_mov_b32_e32 v1, 0
	s_waitcnt vmcnt(0)
	v_and_b32_e32 v4, 0x7fffff, v0
	s_waitcnt_vscnt null, 0x0
	global_store_dwordx2 v[2:3], v[0:1], off
	v_readfirstlane_b32 m0, v4
	s_sendmsg sendmsg(MSG_INTERRUPT)
.LBB3_525:
	s_or_b32 exec_lo, exec_lo, s5
	s_branch .LBB3_529
	.p2align	6
.LBB3_526:                              ;   in Loop: Header=BB3_529 Depth=1
	s_or_b32 exec_lo, exec_lo, s5
	v_readfirstlane_b32 s5, v0
	s_cmp_eq_u32 s5, 0
	s_cbranch_scc1 .LBB3_528
; %bb.527:                              ;   in Loop: Header=BB3_529 Depth=1
	s_sleep 1
	s_cbranch_execnz .LBB3_529
	s_branch .LBB3_531
	.p2align	6
.LBB3_528:
	s_branch .LBB3_531
.LBB3_529:                              ; =>This Inner Loop Header: Depth=1
	v_mov_b32_e32 v0, 1
	s_and_saveexec_b32 s5, s4
	s_cbranch_execz .LBB3_526
; %bb.530:                              ;   in Loop: Header=BB3_529 Depth=1
	global_load_dword v0, v[8:9], off offset:20 glc dlc
	s_waitcnt vmcnt(0)
	buffer_gl1_inv
	buffer_gl0_inv
	v_and_b32_e32 v0, 1, v0
	s_branch .LBB3_526
.LBB3_531:
	global_load_dwordx2 v[0:1], v[10:11], off
	s_and_saveexec_b32 s5, s4
	s_cbranch_execz .LBB3_535
; %bb.532:
	v_mov_b32_e32 v8, 0
	s_clause 0x2
	global_load_dwordx2 v[4:5], v8, s[26:27] offset:40
	global_load_dwordx2 v[9:10], v8, s[26:27] offset:24 glc dlc
	global_load_dwordx2 v[6:7], v8, s[26:27]
	s_waitcnt vmcnt(2)
	v_add_co_u32 v11, vcc_lo, v4, 1
	v_add_co_ci_u32_e32 v12, vcc_lo, 0, v5, vcc_lo
	v_add_co_u32 v2, vcc_lo, v11, s6
	v_add_co_ci_u32_e32 v3, vcc_lo, s7, v12, vcc_lo
	v_cmp_eq_u64_e32 vcc_lo, 0, v[2:3]
	v_cndmask_b32_e32 v3, v3, v12, vcc_lo
	v_cndmask_b32_e32 v2, v2, v11, vcc_lo
	v_and_b32_e32 v5, v3, v5
	v_and_b32_e32 v4, v2, v4
	v_mul_lo_u32 v5, v5, 24
	v_mul_hi_u32 v11, v4, 24
	v_mul_lo_u32 v4, v4, 24
	v_add_nc_u32_e32 v5, v11, v5
	s_waitcnt vmcnt(0)
	v_add_co_u32 v6, vcc_lo, v6, v4
	v_mov_b32_e32 v4, v9
	v_add_co_ci_u32_e32 v7, vcc_lo, v7, v5, vcc_lo
	v_mov_b32_e32 v5, v10
	global_store_dwordx2 v[6:7], v[9:10], off
	s_waitcnt_vscnt null, 0x0
	global_atomic_cmpswap_x2 v[4:5], v8, v[2:5], s[26:27] offset:24 glc
	s_waitcnt vmcnt(0)
	v_cmp_ne_u64_e32 vcc_lo, v[4:5], v[9:10]
	s_and_b32 exec_lo, exec_lo, vcc_lo
	s_cbranch_execz .LBB3_535
; %bb.533:
	s_mov_b32 s4, 0
.LBB3_534:                              ; =>This Inner Loop Header: Depth=1
	s_sleep 1
	global_store_dwordx2 v[6:7], v[4:5], off
	s_waitcnt_vscnt null, 0x0
	global_atomic_cmpswap_x2 v[9:10], v8, v[2:5], s[26:27] offset:24 glc
	s_waitcnt vmcnt(0)
	v_cmp_eq_u64_e32 vcc_lo, v[9:10], v[4:5]
	v_mov_b32_e32 v4, v9
	v_mov_b32_e32 v5, v10
	s_or_b32 s4, vcc_lo, s4
	s_andn2_b32 exec_lo, exec_lo, s4
	s_cbranch_execnz .LBB3_534
.LBB3_535:
	s_or_b32 exec_lo, exec_lo, s5
.LBB3_536:
	s_getpc_b64 s[6:7]
	s_add_u32 s6, s6, .str.1@rel32@lo+4
	s_addc_u32 s7, s7, .str.1@rel32@hi+12
	s_cmp_lg_u64 s[6:7], 0
	s_cbranch_scc0 .LBB3_615
; %bb.537:
	s_waitcnt vmcnt(0)
	v_and_b32_e32 v6, -3, v0
	v_mov_b32_e32 v7, v1
	v_mov_b32_e32 v3, 0
	;; [unrolled: 1-line block ×4, first 2 shown]
	s_mov_b64 s[10:11], 0x53
	s_branch .LBB3_539
.LBB3_538:                              ;   in Loop: Header=BB3_539 Depth=1
	s_or_b32 exec_lo, exec_lo, s5
	s_sub_u32 s10, s10, s16
	s_subb_u32 s11, s11, s17
	s_add_u32 s6, s6, s16
	s_addc_u32 s7, s7, s17
	s_cmp_lg_u64 s[10:11], 0
	s_cbranch_scc0 .LBB3_614
.LBB3_539:                              ; =>This Loop Header: Depth=1
                                        ;     Child Loop BB3_548 Depth 2
                                        ;     Child Loop BB3_544 Depth 2
	;; [unrolled: 1-line block ×11, first 2 shown]
	v_cmp_lt_u64_e64 s4, s[10:11], 56
	v_cmp_gt_u64_e64 s5, s[10:11], 7
                                        ; implicit-def: $sgpr23
	s_and_b32 s4, s4, exec_lo
	s_cselect_b32 s17, s11, 0
	s_cselect_b32 s16, s10, 56
	s_and_b32 vcc_lo, exec_lo, s5
	s_mov_b32 s4, -1
	s_cbranch_vccz .LBB3_546
; %bb.540:                              ;   in Loop: Header=BB3_539 Depth=1
	s_andn2_b32 vcc_lo, exec_lo, s4
	s_mov_b64 s[4:5], s[6:7]
	s_cbranch_vccz .LBB3_550
.LBB3_541:                              ;   in Loop: Header=BB3_539 Depth=1
	s_cmp_gt_u32 s23, 7
	s_cbranch_scc1 .LBB3_551
.LBB3_542:                              ;   in Loop: Header=BB3_539 Depth=1
	v_mov_b32_e32 v10, 0
	v_mov_b32_e32 v11, 0
	s_cmp_eq_u32 s23, 0
	s_cbranch_scc1 .LBB3_545
; %bb.543:                              ;   in Loop: Header=BB3_539 Depth=1
	s_mov_b64 s[18:19], 0
	s_mov_b64 s[20:21], 0
.LBB3_544:                              ;   Parent Loop BB3_539 Depth=1
                                        ; =>  This Inner Loop Header: Depth=2
	s_add_u32 s24, s4, s20
	s_addc_u32 s25, s5, s21
	s_add_u32 s20, s20, 1
	global_load_ubyte v2, v3, s[24:25]
	s_addc_u32 s21, s21, 0
	s_waitcnt vmcnt(0)
	v_and_b32_e32 v2, 0xffff, v2
	v_lshlrev_b64 v[12:13], s18, v[2:3]
	s_add_u32 s18, s18, 8
	s_addc_u32 s19, s19, 0
	s_cmp_lg_u32 s23, s20
	v_or_b32_e32 v10, v12, v10
	v_or_b32_e32 v11, v13, v11
	s_cbranch_scc1 .LBB3_544
.LBB3_545:                              ;   in Loop: Header=BB3_539 Depth=1
	s_mov_b32 s24, 0
	s_cbranch_execz .LBB3_552
	s_branch .LBB3_553
.LBB3_546:                              ;   in Loop: Header=BB3_539 Depth=1
	s_waitcnt vmcnt(0)
	v_mov_b32_e32 v8, 0
	v_mov_b32_e32 v9, 0
	s_cmp_eq_u64 s[10:11], 0
	s_mov_b64 s[4:5], 0
	s_cbranch_scc1 .LBB3_549
; %bb.547:                              ;   in Loop: Header=BB3_539 Depth=1
	v_mov_b32_e32 v8, 0
	v_mov_b32_e32 v9, 0
	s_lshl_b64 s[18:19], s[16:17], 3
	s_mov_b64 s[20:21], s[6:7]
.LBB3_548:                              ;   Parent Loop BB3_539 Depth=1
                                        ; =>  This Inner Loop Header: Depth=2
	global_load_ubyte v2, v3, s[20:21]
	s_waitcnt vmcnt(0)
	v_and_b32_e32 v2, 0xffff, v2
	v_lshlrev_b64 v[10:11], s4, v[2:3]
	s_add_u32 s4, s4, 8
	s_addc_u32 s5, s5, 0
	s_add_u32 s20, s20, 1
	s_addc_u32 s21, s21, 0
	s_cmp_lg_u32 s18, s4
	v_or_b32_e32 v8, v10, v8
	v_or_b32_e32 v9, v11, v9
	s_cbranch_scc1 .LBB3_548
.LBB3_549:                              ;   in Loop: Header=BB3_539 Depth=1
	s_mov_b32 s23, 0
	s_mov_b64 s[4:5], s[6:7]
	s_cbranch_execnz .LBB3_541
.LBB3_550:                              ;   in Loop: Header=BB3_539 Depth=1
	global_load_dwordx2 v[8:9], v3, s[6:7]
	s_add_i32 s23, s16, -8
	s_add_u32 s4, s6, 8
	s_addc_u32 s5, s7, 0
	s_cmp_gt_u32 s23, 7
	s_cbranch_scc0 .LBB3_542
.LBB3_551:                              ;   in Loop: Header=BB3_539 Depth=1
                                        ; implicit-def: $vgpr10_vgpr11
                                        ; implicit-def: $sgpr24
.LBB3_552:                              ;   in Loop: Header=BB3_539 Depth=1
	global_load_dwordx2 v[10:11], v3, s[4:5]
	s_add_i32 s24, s23, -8
	s_add_u32 s4, s4, 8
	s_addc_u32 s5, s5, 0
.LBB3_553:                              ;   in Loop: Header=BB3_539 Depth=1
	s_cmp_gt_u32 s24, 7
	s_cbranch_scc1 .LBB3_558
; %bb.554:                              ;   in Loop: Header=BB3_539 Depth=1
	v_mov_b32_e32 v12, 0
	v_mov_b32_e32 v13, 0
	s_cmp_eq_u32 s24, 0
	s_cbranch_scc1 .LBB3_557
; %bb.555:                              ;   in Loop: Header=BB3_539 Depth=1
	s_mov_b64 s[18:19], 0
	s_mov_b64 s[20:21], 0
.LBB3_556:                              ;   Parent Loop BB3_539 Depth=1
                                        ; =>  This Inner Loop Header: Depth=2
	s_add_u32 vcc_lo, s4, s20
	s_addc_u32 vcc_hi, s5, s21
	s_add_u32 s20, s20, 1
	global_load_ubyte v2, v3, vcc
	s_addc_u32 s21, s21, 0
	s_waitcnt vmcnt(0)
	v_and_b32_e32 v2, 0xffff, v2
	v_lshlrev_b64 v[14:15], s18, v[2:3]
	s_add_u32 s18, s18, 8
	s_addc_u32 s19, s19, 0
	s_cmp_lg_u32 s24, s20
	v_or_b32_e32 v12, v14, v12
	v_or_b32_e32 v13, v15, v13
	s_cbranch_scc1 .LBB3_556
.LBB3_557:                              ;   in Loop: Header=BB3_539 Depth=1
	s_mov_b32 s23, 0
	s_cbranch_execz .LBB3_559
	s_branch .LBB3_560
.LBB3_558:                              ;   in Loop: Header=BB3_539 Depth=1
                                        ; implicit-def: $sgpr23
.LBB3_559:                              ;   in Loop: Header=BB3_539 Depth=1
	global_load_dwordx2 v[12:13], v3, s[4:5]
	s_add_i32 s23, s24, -8
	s_add_u32 s4, s4, 8
	s_addc_u32 s5, s5, 0
.LBB3_560:                              ;   in Loop: Header=BB3_539 Depth=1
	s_cmp_gt_u32 s23, 7
	s_cbranch_scc1 .LBB3_565
; %bb.561:                              ;   in Loop: Header=BB3_539 Depth=1
	v_mov_b32_e32 v14, 0
	v_mov_b32_e32 v15, 0
	s_cmp_eq_u32 s23, 0
	s_cbranch_scc1 .LBB3_564
; %bb.562:                              ;   in Loop: Header=BB3_539 Depth=1
	s_mov_b64 s[18:19], 0
	s_mov_b64 s[20:21], 0
.LBB3_563:                              ;   Parent Loop BB3_539 Depth=1
                                        ; =>  This Inner Loop Header: Depth=2
	s_add_u32 s24, s4, s20
	s_addc_u32 s25, s5, s21
	s_add_u32 s20, s20, 1
	global_load_ubyte v2, v3, s[24:25]
	s_addc_u32 s21, s21, 0
	s_waitcnt vmcnt(0)
	v_and_b32_e32 v2, 0xffff, v2
	v_lshlrev_b64 v[16:17], s18, v[2:3]
	s_add_u32 s18, s18, 8
	s_addc_u32 s19, s19, 0
	s_cmp_lg_u32 s23, s20
	v_or_b32_e32 v14, v16, v14
	v_or_b32_e32 v15, v17, v15
	s_cbranch_scc1 .LBB3_563
.LBB3_564:                              ;   in Loop: Header=BB3_539 Depth=1
	s_mov_b32 s24, 0
	s_cbranch_execz .LBB3_566
	s_branch .LBB3_567
.LBB3_565:                              ;   in Loop: Header=BB3_539 Depth=1
                                        ; implicit-def: $vgpr14_vgpr15
                                        ; implicit-def: $sgpr24
.LBB3_566:                              ;   in Loop: Header=BB3_539 Depth=1
	global_load_dwordx2 v[14:15], v3, s[4:5]
	s_add_i32 s24, s23, -8
	s_add_u32 s4, s4, 8
	s_addc_u32 s5, s5, 0
.LBB3_567:                              ;   in Loop: Header=BB3_539 Depth=1
	s_cmp_gt_u32 s24, 7
	s_cbranch_scc1 .LBB3_572
; %bb.568:                              ;   in Loop: Header=BB3_539 Depth=1
	v_mov_b32_e32 v16, 0
	v_mov_b32_e32 v17, 0
	s_cmp_eq_u32 s24, 0
	s_cbranch_scc1 .LBB3_571
; %bb.569:                              ;   in Loop: Header=BB3_539 Depth=1
	s_mov_b64 s[18:19], 0
	s_mov_b64 s[20:21], 0
.LBB3_570:                              ;   Parent Loop BB3_539 Depth=1
                                        ; =>  This Inner Loop Header: Depth=2
	s_add_u32 vcc_lo, s4, s20
	s_addc_u32 vcc_hi, s5, s21
	s_add_u32 s20, s20, 1
	global_load_ubyte v2, v3, vcc
	s_addc_u32 s21, s21, 0
	s_waitcnt vmcnt(0)
	v_and_b32_e32 v2, 0xffff, v2
	v_lshlrev_b64 v[18:19], s18, v[2:3]
	s_add_u32 s18, s18, 8
	s_addc_u32 s19, s19, 0
	s_cmp_lg_u32 s24, s20
	v_or_b32_e32 v16, v18, v16
	v_or_b32_e32 v17, v19, v17
	s_cbranch_scc1 .LBB3_570
.LBB3_571:                              ;   in Loop: Header=BB3_539 Depth=1
	s_mov_b32 s23, 0
	s_cbranch_execz .LBB3_573
	s_branch .LBB3_574
.LBB3_572:                              ;   in Loop: Header=BB3_539 Depth=1
                                        ; implicit-def: $sgpr23
.LBB3_573:                              ;   in Loop: Header=BB3_539 Depth=1
	global_load_dwordx2 v[16:17], v3, s[4:5]
	s_add_i32 s23, s24, -8
	s_add_u32 s4, s4, 8
	s_addc_u32 s5, s5, 0
.LBB3_574:                              ;   in Loop: Header=BB3_539 Depth=1
	s_cmp_gt_u32 s23, 7
	s_cbranch_scc1 .LBB3_579
; %bb.575:                              ;   in Loop: Header=BB3_539 Depth=1
	v_mov_b32_e32 v18, 0
	v_mov_b32_e32 v19, 0
	s_cmp_eq_u32 s23, 0
	s_cbranch_scc1 .LBB3_578
; %bb.576:                              ;   in Loop: Header=BB3_539 Depth=1
	s_mov_b64 s[18:19], 0
	s_mov_b64 s[20:21], 0
.LBB3_577:                              ;   Parent Loop BB3_539 Depth=1
                                        ; =>  This Inner Loop Header: Depth=2
	s_add_u32 s24, s4, s20
	s_addc_u32 s25, s5, s21
	s_add_u32 s20, s20, 1
	global_load_ubyte v2, v3, s[24:25]
	s_addc_u32 s21, s21, 0
	s_waitcnt vmcnt(0)
	v_and_b32_e32 v2, 0xffff, v2
	v_lshlrev_b64 v[20:21], s18, v[2:3]
	s_add_u32 s18, s18, 8
	s_addc_u32 s19, s19, 0
	s_cmp_lg_u32 s23, s20
	v_or_b32_e32 v18, v20, v18
	v_or_b32_e32 v19, v21, v19
	s_cbranch_scc1 .LBB3_577
.LBB3_578:                              ;   in Loop: Header=BB3_539 Depth=1
	s_mov_b32 s24, 0
	s_cbranch_execz .LBB3_580
	s_branch .LBB3_581
.LBB3_579:                              ;   in Loop: Header=BB3_539 Depth=1
                                        ; implicit-def: $vgpr18_vgpr19
                                        ; implicit-def: $sgpr24
.LBB3_580:                              ;   in Loop: Header=BB3_539 Depth=1
	global_load_dwordx2 v[18:19], v3, s[4:5]
	s_add_i32 s24, s23, -8
	s_add_u32 s4, s4, 8
	s_addc_u32 s5, s5, 0
.LBB3_581:                              ;   in Loop: Header=BB3_539 Depth=1
	s_cmp_gt_u32 s24, 7
	s_cbranch_scc1 .LBB3_586
; %bb.582:                              ;   in Loop: Header=BB3_539 Depth=1
	v_mov_b32_e32 v20, 0
	v_mov_b32_e32 v21, 0
	s_cmp_eq_u32 s24, 0
	s_cbranch_scc1 .LBB3_585
; %bb.583:                              ;   in Loop: Header=BB3_539 Depth=1
	s_mov_b64 s[18:19], 0
	s_mov_b64 s[20:21], s[4:5]
.LBB3_584:                              ;   Parent Loop BB3_539 Depth=1
                                        ; =>  This Inner Loop Header: Depth=2
	global_load_ubyte v2, v3, s[20:21]
	s_add_i32 s24, s24, -1
	s_waitcnt vmcnt(0)
	v_and_b32_e32 v2, 0xffff, v2
	v_lshlrev_b64 v[22:23], s18, v[2:3]
	s_add_u32 s18, s18, 8
	s_addc_u32 s19, s19, 0
	s_add_u32 s20, s20, 1
	s_addc_u32 s21, s21, 0
	s_cmp_lg_u32 s24, 0
	v_or_b32_e32 v20, v22, v20
	v_or_b32_e32 v21, v23, v21
	s_cbranch_scc1 .LBB3_584
.LBB3_585:                              ;   in Loop: Header=BB3_539 Depth=1
	s_cbranch_execz .LBB3_587
	s_branch .LBB3_588
.LBB3_586:                              ;   in Loop: Header=BB3_539 Depth=1
.LBB3_587:                              ;   in Loop: Header=BB3_539 Depth=1
	global_load_dwordx2 v[20:21], v3, s[4:5]
.LBB3_588:                              ;   in Loop: Header=BB3_539 Depth=1
	v_readfirstlane_b32 s4, v39
	v_mov_b32_e32 v26, 0
	v_mov_b32_e32 v27, 0
	v_cmp_eq_u32_e64 s4, s4, v39
	s_and_saveexec_b32 s5, s4
	s_cbranch_execz .LBB3_594
; %bb.589:                              ;   in Loop: Header=BB3_539 Depth=1
	global_load_dwordx2 v[24:25], v3, s[26:27] offset:24 glc dlc
	s_waitcnt vmcnt(0)
	buffer_gl1_inv
	buffer_gl0_inv
	s_clause 0x1
	global_load_dwordx2 v[22:23], v3, s[26:27] offset:40
	global_load_dwordx2 v[26:27], v3, s[26:27]
	s_mov_b32 s18, exec_lo
	s_waitcnt vmcnt(1)
	v_and_b32_e32 v2, v23, v25
	v_and_b32_e32 v22, v22, v24
	v_mul_lo_u32 v2, v2, 24
	v_mul_hi_u32 v23, v22, 24
	v_mul_lo_u32 v22, v22, 24
	v_add_nc_u32_e32 v2, v23, v2
	s_waitcnt vmcnt(0)
	v_add_co_u32 v22, vcc_lo, v26, v22
	v_add_co_ci_u32_e32 v23, vcc_lo, v27, v2, vcc_lo
	global_load_dwordx2 v[22:23], v[22:23], off glc dlc
	s_waitcnt vmcnt(0)
	global_atomic_cmpswap_x2 v[26:27], v3, v[22:25], s[26:27] offset:24 glc
	s_waitcnt vmcnt(0)
	buffer_gl1_inv
	buffer_gl0_inv
	v_cmpx_ne_u64_e64 v[26:27], v[24:25]
	s_cbranch_execz .LBB3_593
; %bb.590:                              ;   in Loop: Header=BB3_539 Depth=1
	s_mov_b32 s19, 0
	.p2align	6
.LBB3_591:                              ;   Parent Loop BB3_539 Depth=1
                                        ; =>  This Inner Loop Header: Depth=2
	s_sleep 1
	s_clause 0x1
	global_load_dwordx2 v[22:23], v3, s[26:27] offset:40
	global_load_dwordx2 v[28:29], v3, s[26:27]
	v_mov_b32_e32 v24, v26
	v_mov_b32_e32 v25, v27
	s_waitcnt vmcnt(1)
	v_and_b32_e32 v2, v22, v24
	v_and_b32_e32 v22, v23, v25
	s_waitcnt vmcnt(0)
	v_mad_u64_u32 v[26:27], null, v2, 24, v[28:29]
	v_mov_b32_e32 v2, v27
	v_mad_u64_u32 v[22:23], null, v22, 24, v[2:3]
	v_mov_b32_e32 v27, v22
	global_load_dwordx2 v[22:23], v[26:27], off glc dlc
	s_waitcnt vmcnt(0)
	global_atomic_cmpswap_x2 v[26:27], v3, v[22:25], s[26:27] offset:24 glc
	s_waitcnt vmcnt(0)
	buffer_gl1_inv
	buffer_gl0_inv
	v_cmp_eq_u64_e32 vcc_lo, v[26:27], v[24:25]
	s_or_b32 s19, vcc_lo, s19
	s_andn2_b32 exec_lo, exec_lo, s19
	s_cbranch_execnz .LBB3_591
; %bb.592:                              ;   in Loop: Header=BB3_539 Depth=1
	s_or_b32 exec_lo, exec_lo, s19
.LBB3_593:                              ;   in Loop: Header=BB3_539 Depth=1
	s_or_b32 exec_lo, exec_lo, s18
.LBB3_594:                              ;   in Loop: Header=BB3_539 Depth=1
	s_or_b32 exec_lo, exec_lo, s5
	s_clause 0x1
	global_load_dwordx2 v[28:29], v3, s[26:27] offset:40
	global_load_dwordx4 v[22:25], v3, s[26:27]
	v_readfirstlane_b32 s18, v26
	v_readfirstlane_b32 s19, v27
	s_mov_b32 s5, exec_lo
	s_waitcnt vmcnt(1)
	v_readfirstlane_b32 s20, v28
	v_readfirstlane_b32 s21, v29
	s_and_b64 s[20:21], s[18:19], s[20:21]
	s_mul_i32 s23, s21, 24
	s_mul_hi_u32 s24, s20, 24
	s_mul_i32 s25, s20, 24
	s_add_i32 s24, s24, s23
	s_waitcnt vmcnt(0)
	v_add_co_u32 v26, vcc_lo, v22, s25
	v_add_co_ci_u32_e32 v27, vcc_lo, s24, v23, vcc_lo
	s_and_saveexec_b32 s23, s4
	s_cbranch_execz .LBB3_596
; %bb.595:                              ;   in Loop: Header=BB3_539 Depth=1
	v_mov_b32_e32 v2, s5
	global_store_dwordx4 v[26:27], v[2:5], off offset:8
.LBB3_596:                              ;   in Loop: Header=BB3_539 Depth=1
	s_or_b32 exec_lo, exec_lo, s23
	s_lshl_b64 s[20:21], s[20:21], 12
	v_or_b32_e32 v2, 2, v6
	v_add_co_u32 v24, vcc_lo, v24, s20
	v_add_co_ci_u32_e32 v25, vcc_lo, s21, v25, vcc_lo
	v_cmp_gt_u64_e64 vcc_lo, s[10:11], 56
	s_lshl_b32 s5, s16, 2
	v_readfirstlane_b32 s20, v24
	s_add_i32 s5, s5, 28
	v_readfirstlane_b32 s21, v25
	s_and_b32 s5, s5, 0x1e0
	v_cndmask_b32_e32 v2, v2, v6, vcc_lo
	v_and_or_b32 v6, 0xffffff1f, v2, s5
	global_store_dwordx4 v38, v[10:13], s[20:21] offset:16
	global_store_dwordx4 v38, v[6:9], s[20:21]
	global_store_dwordx4 v38, v[14:17], s[20:21] offset:32
	global_store_dwordx4 v38, v[18:21], s[20:21] offset:48
	s_and_saveexec_b32 s5, s4
	s_cbranch_execz .LBB3_604
; %bb.597:                              ;   in Loop: Header=BB3_539 Depth=1
	s_clause 0x1
	global_load_dwordx2 v[14:15], v3, s[26:27] offset:32 glc dlc
	global_load_dwordx2 v[6:7], v3, s[26:27] offset:40
	v_mov_b32_e32 v12, s18
	v_mov_b32_e32 v13, s19
	s_waitcnt vmcnt(0)
	v_readfirstlane_b32 s20, v6
	v_readfirstlane_b32 s21, v7
	s_and_b64 s[20:21], s[20:21], s[18:19]
	s_mul_i32 s21, s21, 24
	s_mul_hi_u32 s23, s20, 24
	s_mul_i32 s20, s20, 24
	s_add_i32 s23, s23, s21
	v_add_co_u32 v10, vcc_lo, v22, s20
	v_add_co_ci_u32_e32 v11, vcc_lo, s23, v23, vcc_lo
	s_mov_b32 s20, exec_lo
	global_store_dwordx2 v[10:11], v[14:15], off
	s_waitcnt_vscnt null, 0x0
	global_atomic_cmpswap_x2 v[8:9], v3, v[12:15], s[26:27] offset:32 glc
	s_waitcnt vmcnt(0)
	v_cmpx_ne_u64_e64 v[8:9], v[14:15]
	s_cbranch_execz .LBB3_600
; %bb.598:                              ;   in Loop: Header=BB3_539 Depth=1
	s_mov_b32 s21, 0
.LBB3_599:                              ;   Parent Loop BB3_539 Depth=1
                                        ; =>  This Inner Loop Header: Depth=2
	v_mov_b32_e32 v6, s18
	v_mov_b32_e32 v7, s19
	s_sleep 1
	global_store_dwordx2 v[10:11], v[8:9], off
	s_waitcnt_vscnt null, 0x0
	global_atomic_cmpswap_x2 v[6:7], v3, v[6:9], s[26:27] offset:32 glc
	s_waitcnt vmcnt(0)
	v_cmp_eq_u64_e32 vcc_lo, v[6:7], v[8:9]
	v_mov_b32_e32 v9, v7
	v_mov_b32_e32 v8, v6
	s_or_b32 s21, vcc_lo, s21
	s_andn2_b32 exec_lo, exec_lo, s21
	s_cbranch_execnz .LBB3_599
.LBB3_600:                              ;   in Loop: Header=BB3_539 Depth=1
	s_or_b32 exec_lo, exec_lo, s20
	global_load_dwordx2 v[6:7], v3, s[26:27] offset:16
	s_mov_b32 s21, exec_lo
	s_mov_b32 s20, exec_lo
	v_mbcnt_lo_u32_b32 v2, s21, 0
	v_cmpx_eq_u32_e32 0, v2
	s_cbranch_execz .LBB3_602
; %bb.601:                              ;   in Loop: Header=BB3_539 Depth=1
	s_bcnt1_i32_b32 s21, s21
	v_mov_b32_e32 v2, s21
	s_waitcnt vmcnt(0)
	global_atomic_add_x2 v[6:7], v[2:3], off offset:8
.LBB3_602:                              ;   in Loop: Header=BB3_539 Depth=1
	s_or_b32 exec_lo, exec_lo, s20
	s_waitcnt vmcnt(0)
	global_load_dwordx2 v[8:9], v[6:7], off offset:16
	s_waitcnt vmcnt(0)
	v_cmp_eq_u64_e32 vcc_lo, 0, v[8:9]
	s_cbranch_vccnz .LBB3_604
; %bb.603:                              ;   in Loop: Header=BB3_539 Depth=1
	global_load_dword v2, v[6:7], off offset:24
	s_waitcnt vmcnt(0)
	v_and_b32_e32 v6, 0x7fffff, v2
	s_waitcnt_vscnt null, 0x0
	global_store_dwordx2 v[8:9], v[2:3], off
	v_readfirstlane_b32 m0, v6
	s_sendmsg sendmsg(MSG_INTERRUPT)
.LBB3_604:                              ;   in Loop: Header=BB3_539 Depth=1
	s_or_b32 exec_lo, exec_lo, s5
	v_add_co_u32 v6, vcc_lo, v24, v38
	v_add_co_ci_u32_e32 v7, vcc_lo, 0, v25, vcc_lo
	s_branch .LBB3_608
	.p2align	6
.LBB3_605:                              ;   in Loop: Header=BB3_608 Depth=2
	s_or_b32 exec_lo, exec_lo, s5
	v_readfirstlane_b32 s5, v2
	s_cmp_eq_u32 s5, 0
	s_cbranch_scc1 .LBB3_607
; %bb.606:                              ;   in Loop: Header=BB3_608 Depth=2
	s_sleep 1
	s_cbranch_execnz .LBB3_608
	s_branch .LBB3_610
	.p2align	6
.LBB3_607:                              ;   in Loop: Header=BB3_539 Depth=1
	s_branch .LBB3_610
.LBB3_608:                              ;   Parent Loop BB3_539 Depth=1
                                        ; =>  This Inner Loop Header: Depth=2
	v_mov_b32_e32 v2, 1
	s_and_saveexec_b32 s5, s4
	s_cbranch_execz .LBB3_605
; %bb.609:                              ;   in Loop: Header=BB3_608 Depth=2
	global_load_dword v2, v[26:27], off offset:20 glc dlc
	s_waitcnt vmcnt(0)
	buffer_gl1_inv
	buffer_gl0_inv
	v_and_b32_e32 v2, 1, v2
	s_branch .LBB3_605
.LBB3_610:                              ;   in Loop: Header=BB3_539 Depth=1
	global_load_dwordx4 v[6:9], v[6:7], off
	s_and_saveexec_b32 s5, s4
	s_cbranch_execz .LBB3_538
; %bb.611:                              ;   in Loop: Header=BB3_539 Depth=1
	s_clause 0x2
	global_load_dwordx2 v[10:11], v3, s[26:27] offset:40
	global_load_dwordx2 v[14:15], v3, s[26:27] offset:24 glc dlc
	global_load_dwordx2 v[12:13], v3, s[26:27]
	s_waitcnt vmcnt(2)
	v_add_co_u32 v2, vcc_lo, v10, 1
	v_add_co_ci_u32_e32 v16, vcc_lo, 0, v11, vcc_lo
	v_add_co_u32 v8, vcc_lo, v2, s18
	v_add_co_ci_u32_e32 v9, vcc_lo, s19, v16, vcc_lo
	v_cmp_eq_u64_e32 vcc_lo, 0, v[8:9]
	v_cndmask_b32_e32 v9, v9, v16, vcc_lo
	v_cndmask_b32_e32 v8, v8, v2, vcc_lo
	v_and_b32_e32 v2, v9, v11
	v_and_b32_e32 v10, v8, v10
	v_mul_lo_u32 v2, v2, 24
	v_mul_hi_u32 v11, v10, 24
	v_mul_lo_u32 v10, v10, 24
	v_add_nc_u32_e32 v2, v11, v2
	s_waitcnt vmcnt(0)
	v_add_co_u32 v12, vcc_lo, v12, v10
	v_mov_b32_e32 v10, v14
	v_mov_b32_e32 v11, v15
	v_add_co_ci_u32_e32 v13, vcc_lo, v13, v2, vcc_lo
	global_store_dwordx2 v[12:13], v[14:15], off
	s_waitcnt_vscnt null, 0x0
	global_atomic_cmpswap_x2 v[10:11], v3, v[8:11], s[26:27] offset:24 glc
	s_waitcnt vmcnt(0)
	v_cmp_ne_u64_e32 vcc_lo, v[10:11], v[14:15]
	s_and_b32 exec_lo, exec_lo, vcc_lo
	s_cbranch_execz .LBB3_538
; %bb.612:                              ;   in Loop: Header=BB3_539 Depth=1
	s_mov_b32 s4, 0
.LBB3_613:                              ;   Parent Loop BB3_539 Depth=1
                                        ; =>  This Inner Loop Header: Depth=2
	s_sleep 1
	global_store_dwordx2 v[12:13], v[10:11], off
	s_waitcnt_vscnt null, 0x0
	global_atomic_cmpswap_x2 v[14:15], v3, v[8:11], s[26:27] offset:24 glc
	s_waitcnt vmcnt(0)
	v_cmp_eq_u64_e32 vcc_lo, v[14:15], v[10:11]
	v_mov_b32_e32 v10, v14
	v_mov_b32_e32 v11, v15
	s_or_b32 s4, vcc_lo, s4
	s_andn2_b32 exec_lo, exec_lo, s4
	s_cbranch_execnz .LBB3_613
	s_branch .LBB3_538
.LBB3_614:
	s_branch .LBB3_643
.LBB3_615:
	s_cbranch_execz .LBB3_643
; %bb.616:
	v_readfirstlane_b32 s4, v39
	s_waitcnt vmcnt(0)
	v_mov_b32_e32 v8, 0
	v_mov_b32_e32 v9, 0
	v_cmp_eq_u32_e64 s4, s4, v39
	s_and_saveexec_b32 s5, s4
	s_cbranch_execz .LBB3_622
; %bb.617:
	v_mov_b32_e32 v2, 0
	s_mov_b32 s6, exec_lo
	global_load_dwordx2 v[5:6], v2, s[26:27] offset:24 glc dlc
	s_waitcnt vmcnt(0)
	buffer_gl1_inv
	buffer_gl0_inv
	s_clause 0x1
	global_load_dwordx2 v[3:4], v2, s[26:27] offset:40
	global_load_dwordx2 v[7:8], v2, s[26:27]
	s_waitcnt vmcnt(1)
	v_and_b32_e32 v4, v4, v6
	v_and_b32_e32 v3, v3, v5
	v_mul_lo_u32 v4, v4, 24
	v_mul_hi_u32 v9, v3, 24
	v_mul_lo_u32 v3, v3, 24
	v_add_nc_u32_e32 v4, v9, v4
	s_waitcnt vmcnt(0)
	v_add_co_u32 v3, vcc_lo, v7, v3
	v_add_co_ci_u32_e32 v4, vcc_lo, v8, v4, vcc_lo
	global_load_dwordx2 v[3:4], v[3:4], off glc dlc
	s_waitcnt vmcnt(0)
	global_atomic_cmpswap_x2 v[8:9], v2, v[3:6], s[26:27] offset:24 glc
	s_waitcnt vmcnt(0)
	buffer_gl1_inv
	buffer_gl0_inv
	v_cmpx_ne_u64_e64 v[8:9], v[5:6]
	s_cbranch_execz .LBB3_621
; %bb.618:
	s_mov_b32 s7, 0
	.p2align	6
.LBB3_619:                              ; =>This Inner Loop Header: Depth=1
	s_sleep 1
	s_clause 0x1
	global_load_dwordx2 v[3:4], v2, s[26:27] offset:40
	global_load_dwordx2 v[10:11], v2, s[26:27]
	v_mov_b32_e32 v5, v8
	v_mov_b32_e32 v6, v9
	s_waitcnt vmcnt(1)
	v_and_b32_e32 v3, v3, v5
	v_and_b32_e32 v4, v4, v6
	s_waitcnt vmcnt(0)
	v_mad_u64_u32 v[7:8], null, v3, 24, v[10:11]
	v_mov_b32_e32 v3, v8
	v_mad_u64_u32 v[3:4], null, v4, 24, v[3:4]
	v_mov_b32_e32 v8, v3
	global_load_dwordx2 v[3:4], v[7:8], off glc dlc
	s_waitcnt vmcnt(0)
	global_atomic_cmpswap_x2 v[8:9], v2, v[3:6], s[26:27] offset:24 glc
	s_waitcnt vmcnt(0)
	buffer_gl1_inv
	buffer_gl0_inv
	v_cmp_eq_u64_e32 vcc_lo, v[8:9], v[5:6]
	s_or_b32 s7, vcc_lo, s7
	s_andn2_b32 exec_lo, exec_lo, s7
	s_cbranch_execnz .LBB3_619
; %bb.620:
	s_or_b32 exec_lo, exec_lo, s7
.LBB3_621:
	s_or_b32 exec_lo, exec_lo, s6
.LBB3_622:
	s_or_b32 exec_lo, exec_lo, s5
	v_mov_b32_e32 v2, 0
	v_readfirstlane_b32 s6, v8
	v_readfirstlane_b32 s7, v9
	s_mov_b32 s5, exec_lo
	s_clause 0x1
	global_load_dwordx2 v[10:11], v2, s[26:27] offset:40
	global_load_dwordx4 v[4:7], v2, s[26:27]
	s_waitcnt vmcnt(1)
	v_readfirstlane_b32 s10, v10
	v_readfirstlane_b32 s11, v11
	s_and_b64 s[10:11], s[6:7], s[10:11]
	s_mul_i32 s16, s11, 24
	s_mul_hi_u32 s17, s10, 24
	s_mul_i32 s18, s10, 24
	s_add_i32 s17, s17, s16
	s_waitcnt vmcnt(0)
	v_add_co_u32 v8, vcc_lo, v4, s18
	v_add_co_ci_u32_e32 v9, vcc_lo, s17, v5, vcc_lo
	s_and_saveexec_b32 s16, s4
	s_cbranch_execz .LBB3_624
; %bb.623:
	v_mov_b32_e32 v10, s5
	v_mov_b32_e32 v11, v2
	;; [unrolled: 1-line block ×4, first 2 shown]
	global_store_dwordx4 v[8:9], v[10:13], off offset:8
.LBB3_624:
	s_or_b32 exec_lo, exec_lo, s16
	s_lshl_b64 s[10:11], s[10:11], 12
	s_mov_b32 s16, 0
	v_add_co_u32 v6, vcc_lo, v6, s10
	v_add_co_ci_u32_e32 v7, vcc_lo, s11, v7, vcc_lo
	s_mov_b32 s17, s16
	s_mov_b32 s18, s16
	s_mov_b32 s19, s16
	v_and_or_b32 v0, 0xffffff1d, v0, 34
	v_mov_b32_e32 v3, v2
	v_readfirstlane_b32 s10, v6
	v_readfirstlane_b32 s11, v7
	v_mov_b32_e32 v10, s16
	v_mov_b32_e32 v11, s17
	;; [unrolled: 1-line block ×4, first 2 shown]
	global_store_dwordx4 v38, v[0:3], s[10:11]
	global_store_dwordx4 v38, v[10:13], s[10:11] offset:16
	global_store_dwordx4 v38, v[10:13], s[10:11] offset:32
	;; [unrolled: 1-line block ×3, first 2 shown]
	s_and_saveexec_b32 s5, s4
	s_cbranch_execz .LBB3_632
; %bb.625:
	v_mov_b32_e32 v6, 0
	v_mov_b32_e32 v10, s6
	v_mov_b32_e32 v11, s7
	s_clause 0x1
	global_load_dwordx2 v[12:13], v6, s[26:27] offset:32 glc dlc
	global_load_dwordx2 v[0:1], v6, s[26:27] offset:40
	s_waitcnt vmcnt(0)
	v_readfirstlane_b32 s10, v0
	v_readfirstlane_b32 s11, v1
	s_and_b64 s[10:11], s[10:11], s[6:7]
	s_mul_i32 s11, s11, 24
	s_mul_hi_u32 s16, s10, 24
	s_mul_i32 s10, s10, 24
	s_add_i32 s16, s16, s11
	v_add_co_u32 v4, vcc_lo, v4, s10
	v_add_co_ci_u32_e32 v5, vcc_lo, s16, v5, vcc_lo
	s_mov_b32 s10, exec_lo
	global_store_dwordx2 v[4:5], v[12:13], off
	s_waitcnt_vscnt null, 0x0
	global_atomic_cmpswap_x2 v[2:3], v6, v[10:13], s[26:27] offset:32 glc
	s_waitcnt vmcnt(0)
	v_cmpx_ne_u64_e64 v[2:3], v[12:13]
	s_cbranch_execz .LBB3_628
; %bb.626:
	s_mov_b32 s11, 0
.LBB3_627:                              ; =>This Inner Loop Header: Depth=1
	v_mov_b32_e32 v0, s6
	v_mov_b32_e32 v1, s7
	s_sleep 1
	global_store_dwordx2 v[4:5], v[2:3], off
	s_waitcnt_vscnt null, 0x0
	global_atomic_cmpswap_x2 v[0:1], v6, v[0:3], s[26:27] offset:32 glc
	s_waitcnt vmcnt(0)
	v_cmp_eq_u64_e32 vcc_lo, v[0:1], v[2:3]
	v_mov_b32_e32 v3, v1
	v_mov_b32_e32 v2, v0
	s_or_b32 s11, vcc_lo, s11
	s_andn2_b32 exec_lo, exec_lo, s11
	s_cbranch_execnz .LBB3_627
.LBB3_628:
	s_or_b32 exec_lo, exec_lo, s10
	v_mov_b32_e32 v3, 0
	s_mov_b32 s11, exec_lo
	s_mov_b32 s10, exec_lo
	v_mbcnt_lo_u32_b32 v2, s11, 0
	global_load_dwordx2 v[0:1], v3, s[26:27] offset:16
	v_cmpx_eq_u32_e32 0, v2
	s_cbranch_execz .LBB3_630
; %bb.629:
	s_bcnt1_i32_b32 s11, s11
	v_mov_b32_e32 v2, s11
	s_waitcnt vmcnt(0)
	global_atomic_add_x2 v[0:1], v[2:3], off offset:8
.LBB3_630:
	s_or_b32 exec_lo, exec_lo, s10
	s_waitcnt vmcnt(0)
	global_load_dwordx2 v[2:3], v[0:1], off offset:16
	s_waitcnt vmcnt(0)
	v_cmp_eq_u64_e32 vcc_lo, 0, v[2:3]
	s_cbranch_vccnz .LBB3_632
; %bb.631:
	global_load_dword v0, v[0:1], off offset:24
	v_mov_b32_e32 v1, 0
	s_waitcnt vmcnt(0)
	v_and_b32_e32 v4, 0x7fffff, v0
	s_waitcnt_vscnt null, 0x0
	global_store_dwordx2 v[2:3], v[0:1], off
	v_readfirstlane_b32 m0, v4
	s_sendmsg sendmsg(MSG_INTERRUPT)
.LBB3_632:
	s_or_b32 exec_lo, exec_lo, s5
	s_branch .LBB3_636
	.p2align	6
.LBB3_633:                              ;   in Loop: Header=BB3_636 Depth=1
	s_or_b32 exec_lo, exec_lo, s5
	v_readfirstlane_b32 s5, v0
	s_cmp_eq_u32 s5, 0
	s_cbranch_scc1 .LBB3_635
; %bb.634:                              ;   in Loop: Header=BB3_636 Depth=1
	s_sleep 1
	s_cbranch_execnz .LBB3_636
	s_branch .LBB3_638
	.p2align	6
.LBB3_635:
	s_branch .LBB3_638
.LBB3_636:                              ; =>This Inner Loop Header: Depth=1
	v_mov_b32_e32 v0, 1
	s_and_saveexec_b32 s5, s4
	s_cbranch_execz .LBB3_633
; %bb.637:                              ;   in Loop: Header=BB3_636 Depth=1
	global_load_dword v0, v[8:9], off offset:20 glc dlc
	s_waitcnt vmcnt(0)
	buffer_gl1_inv
	buffer_gl0_inv
	v_and_b32_e32 v0, 1, v0
	s_branch .LBB3_633
.LBB3_638:
	s_and_saveexec_b32 s5, s4
	s_cbranch_execz .LBB3_642
; %bb.639:
	v_mov_b32_e32 v6, 0
	s_clause 0x2
	global_load_dwordx2 v[2:3], v6, s[26:27] offset:40
	global_load_dwordx2 v[7:8], v6, s[26:27] offset:24 glc dlc
	global_load_dwordx2 v[4:5], v6, s[26:27]
	s_waitcnt vmcnt(2)
	v_add_co_u32 v9, vcc_lo, v2, 1
	v_add_co_ci_u32_e32 v10, vcc_lo, 0, v3, vcc_lo
	v_add_co_u32 v0, vcc_lo, v9, s6
	v_add_co_ci_u32_e32 v1, vcc_lo, s7, v10, vcc_lo
	v_cmp_eq_u64_e32 vcc_lo, 0, v[0:1]
	v_cndmask_b32_e32 v1, v1, v10, vcc_lo
	v_cndmask_b32_e32 v0, v0, v9, vcc_lo
	v_and_b32_e32 v3, v1, v3
	v_and_b32_e32 v2, v0, v2
	v_mul_lo_u32 v3, v3, 24
	v_mul_hi_u32 v9, v2, 24
	v_mul_lo_u32 v2, v2, 24
	v_add_nc_u32_e32 v3, v9, v3
	s_waitcnt vmcnt(0)
	v_add_co_u32 v4, vcc_lo, v4, v2
	v_mov_b32_e32 v2, v7
	v_add_co_ci_u32_e32 v5, vcc_lo, v5, v3, vcc_lo
	v_mov_b32_e32 v3, v8
	global_store_dwordx2 v[4:5], v[7:8], off
	s_waitcnt_vscnt null, 0x0
	global_atomic_cmpswap_x2 v[2:3], v6, v[0:3], s[26:27] offset:24 glc
	s_waitcnt vmcnt(0)
	v_cmp_ne_u64_e32 vcc_lo, v[2:3], v[7:8]
	s_and_b32 exec_lo, exec_lo, vcc_lo
	s_cbranch_execz .LBB3_642
; %bb.640:
	s_mov_b32 s4, 0
.LBB3_641:                              ; =>This Inner Loop Header: Depth=1
	s_sleep 1
	global_store_dwordx2 v[4:5], v[2:3], off
	s_waitcnt_vscnt null, 0x0
	global_atomic_cmpswap_x2 v[7:8], v6, v[0:3], s[26:27] offset:24 glc
	s_waitcnt vmcnt(0)
	v_cmp_eq_u64_e32 vcc_lo, v[7:8], v[2:3]
	v_mov_b32_e32 v2, v7
	v_mov_b32_e32 v3, v8
	s_or_b32 s4, vcc_lo, s4
	s_andn2_b32 exec_lo, exec_lo, s4
	s_cbranch_execnz .LBB3_641
.LBB3_642:
	s_or_b32 exec_lo, exec_lo, s5
.LBB3_643:
	v_readfirstlane_b32 s4, v39
	s_waitcnt vmcnt(0)
	v_mov_b32_e32 v6, 0
	v_mov_b32_e32 v7, 0
	v_cmp_eq_u32_e64 s4, s4, v39
	s_and_saveexec_b32 s5, s4
	s_cbranch_execz .LBB3_649
; %bb.644:
	v_mov_b32_e32 v0, 0
	s_mov_b32 s6, exec_lo
	global_load_dwordx2 v[3:4], v0, s[26:27] offset:24 glc dlc
	s_waitcnt vmcnt(0)
	buffer_gl1_inv
	buffer_gl0_inv
	s_clause 0x1
	global_load_dwordx2 v[1:2], v0, s[26:27] offset:40
	global_load_dwordx2 v[5:6], v0, s[26:27]
	s_waitcnt vmcnt(1)
	v_and_b32_e32 v2, v2, v4
	v_and_b32_e32 v1, v1, v3
	v_mul_lo_u32 v2, v2, 24
	v_mul_hi_u32 v7, v1, 24
	v_mul_lo_u32 v1, v1, 24
	v_add_nc_u32_e32 v2, v7, v2
	s_waitcnt vmcnt(0)
	v_add_co_u32 v1, vcc_lo, v5, v1
	v_add_co_ci_u32_e32 v2, vcc_lo, v6, v2, vcc_lo
	global_load_dwordx2 v[1:2], v[1:2], off glc dlc
	s_waitcnt vmcnt(0)
	global_atomic_cmpswap_x2 v[6:7], v0, v[1:4], s[26:27] offset:24 glc
	s_waitcnt vmcnt(0)
	buffer_gl1_inv
	buffer_gl0_inv
	v_cmpx_ne_u64_e64 v[6:7], v[3:4]
	s_cbranch_execz .LBB3_648
; %bb.645:
	s_mov_b32 s7, 0
	.p2align	6
.LBB3_646:                              ; =>This Inner Loop Header: Depth=1
	s_sleep 1
	s_clause 0x1
	global_load_dwordx2 v[1:2], v0, s[26:27] offset:40
	global_load_dwordx2 v[8:9], v0, s[26:27]
	v_mov_b32_e32 v3, v6
	v_mov_b32_e32 v4, v7
	s_waitcnt vmcnt(1)
	v_and_b32_e32 v1, v1, v3
	v_and_b32_e32 v2, v2, v4
	s_waitcnt vmcnt(0)
	v_mad_u64_u32 v[5:6], null, v1, 24, v[8:9]
	v_mov_b32_e32 v1, v6
	v_mad_u64_u32 v[1:2], null, v2, 24, v[1:2]
	v_mov_b32_e32 v6, v1
	global_load_dwordx2 v[1:2], v[5:6], off glc dlc
	s_waitcnt vmcnt(0)
	global_atomic_cmpswap_x2 v[6:7], v0, v[1:4], s[26:27] offset:24 glc
	s_waitcnt vmcnt(0)
	buffer_gl1_inv
	buffer_gl0_inv
	v_cmp_eq_u64_e32 vcc_lo, v[6:7], v[3:4]
	s_or_b32 s7, vcc_lo, s7
	s_andn2_b32 exec_lo, exec_lo, s7
	s_cbranch_execnz .LBB3_646
; %bb.647:
	s_or_b32 exec_lo, exec_lo, s7
.LBB3_648:
	s_or_b32 exec_lo, exec_lo, s6
.LBB3_649:
	s_or_b32 exec_lo, exec_lo, s5
	v_mov_b32_e32 v5, 0
	v_readfirstlane_b32 s6, v6
	v_readfirstlane_b32 s7, v7
	s_mov_b32 s5, exec_lo
	s_clause 0x1
	global_load_dwordx2 v[8:9], v5, s[26:27] offset:40
	global_load_dwordx4 v[0:3], v5, s[26:27]
	s_waitcnt vmcnt(1)
	v_readfirstlane_b32 s10, v8
	v_readfirstlane_b32 s11, v9
	s_and_b64 s[10:11], s[6:7], s[10:11]
	s_mul_i32 s16, s11, 24
	s_mul_hi_u32 s17, s10, 24
	s_mul_i32 s18, s10, 24
	s_add_i32 s17, s17, s16
	s_waitcnt vmcnt(0)
	v_add_co_u32 v8, vcc_lo, v0, s18
	v_add_co_ci_u32_e32 v9, vcc_lo, s17, v1, vcc_lo
	s_and_saveexec_b32 s16, s4
	s_cbranch_execz .LBB3_651
; %bb.650:
	v_mov_b32_e32 v4, s5
	v_mov_b32_e32 v6, 2
	;; [unrolled: 1-line block ×3, first 2 shown]
	global_store_dwordx4 v[8:9], v[4:7], off offset:8
.LBB3_651:
	s_or_b32 exec_lo, exec_lo, s16
	s_lshl_b64 s[10:11], s[10:11], 12
	s_mov_b32 s16, 0
	v_add_co_u32 v2, vcc_lo, v2, s10
	v_add_co_ci_u32_e32 v3, vcc_lo, s11, v3, vcc_lo
	s_mov_b32 s17, s16
	v_add_co_u32 v10, vcc_lo, v2, v38
	s_mov_b32 s18, s16
	s_mov_b32 s19, s16
	v_mov_b32_e32 v4, 33
	v_mov_b32_e32 v6, v5
	;; [unrolled: 1-line block ×3, first 2 shown]
	v_readfirstlane_b32 s10, v2
	v_readfirstlane_b32 s11, v3
	v_mov_b32_e32 v12, s16
	v_add_co_ci_u32_e32 v11, vcc_lo, 0, v3, vcc_lo
	v_mov_b32_e32 v13, s17
	v_mov_b32_e32 v14, s18
	;; [unrolled: 1-line block ×3, first 2 shown]
	global_store_dwordx4 v38, v[4:7], s[10:11]
	global_store_dwordx4 v38, v[12:15], s[10:11] offset:16
	global_store_dwordx4 v38, v[12:15], s[10:11] offset:32
	;; [unrolled: 1-line block ×3, first 2 shown]
	s_and_saveexec_b32 s5, s4
	s_cbranch_execz .LBB3_659
; %bb.652:
	v_mov_b32_e32 v6, 0
	v_mov_b32_e32 v12, s6
	;; [unrolled: 1-line block ×3, first 2 shown]
	s_clause 0x1
	global_load_dwordx2 v[14:15], v6, s[26:27] offset:32 glc dlc
	global_load_dwordx2 v[2:3], v6, s[26:27] offset:40
	s_waitcnt vmcnt(0)
	v_readfirstlane_b32 s10, v2
	v_readfirstlane_b32 s11, v3
	s_and_b64 s[10:11], s[10:11], s[6:7]
	s_mul_i32 s11, s11, 24
	s_mul_hi_u32 s16, s10, 24
	s_mul_i32 s10, s10, 24
	s_add_i32 s16, s16, s11
	v_add_co_u32 v4, vcc_lo, v0, s10
	v_add_co_ci_u32_e32 v5, vcc_lo, s16, v1, vcc_lo
	s_mov_b32 s10, exec_lo
	global_store_dwordx2 v[4:5], v[14:15], off
	s_waitcnt_vscnt null, 0x0
	global_atomic_cmpswap_x2 v[2:3], v6, v[12:15], s[26:27] offset:32 glc
	s_waitcnt vmcnt(0)
	v_cmpx_ne_u64_e64 v[2:3], v[14:15]
	s_cbranch_execz .LBB3_655
; %bb.653:
	s_mov_b32 s11, 0
.LBB3_654:                              ; =>This Inner Loop Header: Depth=1
	v_mov_b32_e32 v0, s6
	v_mov_b32_e32 v1, s7
	s_sleep 1
	global_store_dwordx2 v[4:5], v[2:3], off
	s_waitcnt_vscnt null, 0x0
	global_atomic_cmpswap_x2 v[0:1], v6, v[0:3], s[26:27] offset:32 glc
	s_waitcnt vmcnt(0)
	v_cmp_eq_u64_e32 vcc_lo, v[0:1], v[2:3]
	v_mov_b32_e32 v3, v1
	v_mov_b32_e32 v2, v0
	s_or_b32 s11, vcc_lo, s11
	s_andn2_b32 exec_lo, exec_lo, s11
	s_cbranch_execnz .LBB3_654
.LBB3_655:
	s_or_b32 exec_lo, exec_lo, s10
	v_mov_b32_e32 v3, 0
	s_mov_b32 s11, exec_lo
	s_mov_b32 s10, exec_lo
	v_mbcnt_lo_u32_b32 v2, s11, 0
	global_load_dwordx2 v[0:1], v3, s[26:27] offset:16
	v_cmpx_eq_u32_e32 0, v2
	s_cbranch_execz .LBB3_657
; %bb.656:
	s_bcnt1_i32_b32 s11, s11
	v_mov_b32_e32 v2, s11
	s_waitcnt vmcnt(0)
	global_atomic_add_x2 v[0:1], v[2:3], off offset:8
.LBB3_657:
	s_or_b32 exec_lo, exec_lo, s10
	s_waitcnt vmcnt(0)
	global_load_dwordx2 v[2:3], v[0:1], off offset:16
	s_waitcnt vmcnt(0)
	v_cmp_eq_u64_e32 vcc_lo, 0, v[2:3]
	s_cbranch_vccnz .LBB3_659
; %bb.658:
	global_load_dword v0, v[0:1], off offset:24
	v_mov_b32_e32 v1, 0
	s_waitcnt vmcnt(0)
	v_and_b32_e32 v4, 0x7fffff, v0
	s_waitcnt_vscnt null, 0x0
	global_store_dwordx2 v[2:3], v[0:1], off
	v_readfirstlane_b32 m0, v4
	s_sendmsg sendmsg(MSG_INTERRUPT)
.LBB3_659:
	s_or_b32 exec_lo, exec_lo, s5
	s_branch .LBB3_663
	.p2align	6
.LBB3_660:                              ;   in Loop: Header=BB3_663 Depth=1
	s_or_b32 exec_lo, exec_lo, s5
	v_readfirstlane_b32 s5, v0
	s_cmp_eq_u32 s5, 0
	s_cbranch_scc1 .LBB3_662
; %bb.661:                              ;   in Loop: Header=BB3_663 Depth=1
	s_sleep 1
	s_cbranch_execnz .LBB3_663
	s_branch .LBB3_665
	.p2align	6
.LBB3_662:
	s_branch .LBB3_665
.LBB3_663:                              ; =>This Inner Loop Header: Depth=1
	v_mov_b32_e32 v0, 1
	s_and_saveexec_b32 s5, s4
	s_cbranch_execz .LBB3_660
; %bb.664:                              ;   in Loop: Header=BB3_663 Depth=1
	global_load_dword v0, v[8:9], off offset:20 glc dlc
	s_waitcnt vmcnt(0)
	buffer_gl1_inv
	buffer_gl0_inv
	v_and_b32_e32 v0, 1, v0
	s_branch .LBB3_660
.LBB3_665:
	global_load_dwordx2 v[0:1], v[10:11], off
	s_and_saveexec_b32 s5, s4
	s_cbranch_execz .LBB3_669
; %bb.666:
	v_mov_b32_e32 v8, 0
	s_clause 0x2
	global_load_dwordx2 v[4:5], v8, s[26:27] offset:40
	global_load_dwordx2 v[9:10], v8, s[26:27] offset:24 glc dlc
	global_load_dwordx2 v[6:7], v8, s[26:27]
	s_waitcnt vmcnt(2)
	v_add_co_u32 v11, vcc_lo, v4, 1
	v_add_co_ci_u32_e32 v12, vcc_lo, 0, v5, vcc_lo
	v_add_co_u32 v2, vcc_lo, v11, s6
	v_add_co_ci_u32_e32 v3, vcc_lo, s7, v12, vcc_lo
	v_cmp_eq_u64_e32 vcc_lo, 0, v[2:3]
	v_cndmask_b32_e32 v3, v3, v12, vcc_lo
	v_cndmask_b32_e32 v2, v2, v11, vcc_lo
	v_and_b32_e32 v5, v3, v5
	v_and_b32_e32 v4, v2, v4
	v_mul_lo_u32 v5, v5, 24
	v_mul_hi_u32 v11, v4, 24
	v_mul_lo_u32 v4, v4, 24
	v_add_nc_u32_e32 v5, v11, v5
	s_waitcnt vmcnt(0)
	v_add_co_u32 v6, vcc_lo, v6, v4
	v_mov_b32_e32 v4, v9
	v_add_co_ci_u32_e32 v7, vcc_lo, v7, v5, vcc_lo
	v_mov_b32_e32 v5, v10
	global_store_dwordx2 v[6:7], v[9:10], off
	s_waitcnt_vscnt null, 0x0
	global_atomic_cmpswap_x2 v[4:5], v8, v[2:5], s[26:27] offset:24 glc
	s_waitcnt vmcnt(0)
	v_cmp_ne_u64_e32 vcc_lo, v[4:5], v[9:10]
	s_and_b32 exec_lo, exec_lo, vcc_lo
	s_cbranch_execz .LBB3_669
; %bb.667:
	s_mov_b32 s4, 0
.LBB3_668:                              ; =>This Inner Loop Header: Depth=1
	s_sleep 1
	global_store_dwordx2 v[6:7], v[4:5], off
	s_waitcnt_vscnt null, 0x0
	global_atomic_cmpswap_x2 v[9:10], v8, v[2:5], s[26:27] offset:24 glc
	s_waitcnt vmcnt(0)
	v_cmp_eq_u64_e32 vcc_lo, v[9:10], v[4:5]
	v_mov_b32_e32 v4, v9
	v_mov_b32_e32 v5, v10
	s_or_b32 s4, vcc_lo, s4
	s_andn2_b32 exec_lo, exec_lo, s4
	s_cbranch_execnz .LBB3_668
.LBB3_669:
	s_or_b32 exec_lo, exec_lo, s5
	s_and_b32 vcc_lo, exec_lo, s34
	s_cbranch_vccz .LBB3_748
; %bb.670:
	s_waitcnt vmcnt(0)
	v_and_b32_e32 v31, 2, v0
	v_mov_b32_e32 v6, 0
	v_and_b32_e32 v2, -3, v0
	v_mov_b32_e32 v3, v1
	v_mov_b32_e32 v7, 2
	;; [unrolled: 1-line block ×3, first 2 shown]
	s_mov_b64 s[10:11], 3
	s_getpc_b64 s[6:7]
	s_add_u32 s6, s6, .str.6@rel32@lo+4
	s_addc_u32 s7, s7, .str.6@rel32@hi+12
	s_branch .LBB3_672
.LBB3_671:                              ;   in Loop: Header=BB3_672 Depth=1
	s_or_b32 exec_lo, exec_lo, s5
	s_sub_u32 s10, s10, s16
	s_subb_u32 s11, s11, s17
	s_add_u32 s6, s6, s16
	s_addc_u32 s7, s7, s17
	s_cmp_lg_u64 s[10:11], 0
	s_cbranch_scc0 .LBB3_747
.LBB3_672:                              ; =>This Loop Header: Depth=1
                                        ;     Child Loop BB3_681 Depth 2
                                        ;     Child Loop BB3_677 Depth 2
	;; [unrolled: 1-line block ×11, first 2 shown]
	v_cmp_lt_u64_e64 s4, s[10:11], 56
	v_cmp_gt_u64_e64 s5, s[10:11], 7
                                        ; implicit-def: $vgpr11_vgpr12
                                        ; implicit-def: $sgpr23
	s_and_b32 s4, s4, exec_lo
	s_cselect_b32 s17, s11, 0
	s_cselect_b32 s16, s10, 56
	s_and_b32 vcc_lo, exec_lo, s5
	s_mov_b32 s4, -1
	s_cbranch_vccz .LBB3_679
; %bb.673:                              ;   in Loop: Header=BB3_672 Depth=1
	s_andn2_b32 vcc_lo, exec_lo, s4
	s_mov_b64 s[4:5], s[6:7]
	s_cbranch_vccz .LBB3_683
.LBB3_674:                              ;   in Loop: Header=BB3_672 Depth=1
	s_cmp_gt_u32 s23, 7
	s_cbranch_scc1 .LBB3_684
.LBB3_675:                              ;   in Loop: Header=BB3_672 Depth=1
	v_mov_b32_e32 v13, 0
	v_mov_b32_e32 v14, 0
	s_cmp_eq_u32 s23, 0
	s_cbranch_scc1 .LBB3_678
; %bb.676:                              ;   in Loop: Header=BB3_672 Depth=1
	s_mov_b64 s[18:19], 0
	s_mov_b64 s[20:21], 0
.LBB3_677:                              ;   Parent Loop BB3_672 Depth=1
                                        ; =>  This Inner Loop Header: Depth=2
	s_add_u32 s24, s4, s20
	s_addc_u32 s25, s5, s21
	s_add_u32 s20, s20, 1
	global_load_ubyte v4, v6, s[24:25]
	s_addc_u32 s21, s21, 0
	s_waitcnt vmcnt(0)
	v_and_b32_e32 v5, 0xffff, v4
	v_lshlrev_b64 v[4:5], s18, v[5:6]
	s_add_u32 s18, s18, 8
	s_addc_u32 s19, s19, 0
	s_cmp_lg_u32 s23, s20
	v_or_b32_e32 v13, v4, v13
	v_or_b32_e32 v14, v5, v14
	s_cbranch_scc1 .LBB3_677
.LBB3_678:                              ;   in Loop: Header=BB3_672 Depth=1
	s_mov_b32 s24, 0
	s_cbranch_execz .LBB3_685
	s_branch .LBB3_686
.LBB3_679:                              ;   in Loop: Header=BB3_672 Depth=1
	v_mov_b32_e32 v11, 0
	v_mov_b32_e32 v12, 0
	s_cmp_eq_u64 s[10:11], 0
	s_mov_b64 s[4:5], 0
	s_cbranch_scc1 .LBB3_682
; %bb.680:                              ;   in Loop: Header=BB3_672 Depth=1
	v_mov_b32_e32 v11, 0
	v_mov_b32_e32 v12, 0
	s_lshl_b64 s[18:19], s[16:17], 3
	s_mov_b64 s[20:21], s[6:7]
.LBB3_681:                              ;   Parent Loop BB3_672 Depth=1
                                        ; =>  This Inner Loop Header: Depth=2
	global_load_ubyte v4, v6, s[20:21]
	s_waitcnt vmcnt(0)
	v_and_b32_e32 v5, 0xffff, v4
	v_lshlrev_b64 v[4:5], s4, v[5:6]
	s_add_u32 s4, s4, 8
	s_addc_u32 s5, s5, 0
	s_add_u32 s20, s20, 1
	s_addc_u32 s21, s21, 0
	s_cmp_lg_u32 s18, s4
	v_or_b32_e32 v11, v4, v11
	v_or_b32_e32 v12, v5, v12
	s_cbranch_scc1 .LBB3_681
.LBB3_682:                              ;   in Loop: Header=BB3_672 Depth=1
	s_mov_b32 s23, 0
	s_mov_b64 s[4:5], s[6:7]
	s_cbranch_execnz .LBB3_674
.LBB3_683:                              ;   in Loop: Header=BB3_672 Depth=1
	global_load_dwordx2 v[11:12], v6, s[6:7]
	s_add_i32 s23, s16, -8
	s_add_u32 s4, s6, 8
	s_addc_u32 s5, s7, 0
	s_cmp_gt_u32 s23, 7
	s_cbranch_scc0 .LBB3_675
.LBB3_684:                              ;   in Loop: Header=BB3_672 Depth=1
                                        ; implicit-def: $vgpr13_vgpr14
                                        ; implicit-def: $sgpr24
.LBB3_685:                              ;   in Loop: Header=BB3_672 Depth=1
	global_load_dwordx2 v[13:14], v6, s[4:5]
	s_add_i32 s24, s23, -8
	s_add_u32 s4, s4, 8
	s_addc_u32 s5, s5, 0
.LBB3_686:                              ;   in Loop: Header=BB3_672 Depth=1
	s_cmp_gt_u32 s24, 7
	s_cbranch_scc1 .LBB3_691
; %bb.687:                              ;   in Loop: Header=BB3_672 Depth=1
	v_mov_b32_e32 v15, 0
	v_mov_b32_e32 v16, 0
	s_cmp_eq_u32 s24, 0
	s_cbranch_scc1 .LBB3_690
; %bb.688:                              ;   in Loop: Header=BB3_672 Depth=1
	s_mov_b64 s[18:19], 0
	s_mov_b64 s[20:21], 0
.LBB3_689:                              ;   Parent Loop BB3_672 Depth=1
                                        ; =>  This Inner Loop Header: Depth=2
	s_add_u32 vcc_lo, s4, s20
	s_addc_u32 vcc_hi, s5, s21
	s_add_u32 s20, s20, 1
	global_load_ubyte v4, v6, vcc
	s_addc_u32 s21, s21, 0
	s_waitcnt vmcnt(0)
	v_and_b32_e32 v5, 0xffff, v4
	v_lshlrev_b64 v[4:5], s18, v[5:6]
	s_add_u32 s18, s18, 8
	s_addc_u32 s19, s19, 0
	s_cmp_lg_u32 s24, s20
	v_or_b32_e32 v15, v4, v15
	v_or_b32_e32 v16, v5, v16
	s_cbranch_scc1 .LBB3_689
.LBB3_690:                              ;   in Loop: Header=BB3_672 Depth=1
	s_mov_b32 s23, 0
	s_cbranch_execz .LBB3_692
	s_branch .LBB3_693
.LBB3_691:                              ;   in Loop: Header=BB3_672 Depth=1
                                        ; implicit-def: $sgpr23
.LBB3_692:                              ;   in Loop: Header=BB3_672 Depth=1
	global_load_dwordx2 v[15:16], v6, s[4:5]
	s_add_i32 s23, s24, -8
	s_add_u32 s4, s4, 8
	s_addc_u32 s5, s5, 0
.LBB3_693:                              ;   in Loop: Header=BB3_672 Depth=1
	s_cmp_gt_u32 s23, 7
	s_cbranch_scc1 .LBB3_698
; %bb.694:                              ;   in Loop: Header=BB3_672 Depth=1
	v_mov_b32_e32 v17, 0
	v_mov_b32_e32 v18, 0
	s_cmp_eq_u32 s23, 0
	s_cbranch_scc1 .LBB3_697
; %bb.695:                              ;   in Loop: Header=BB3_672 Depth=1
	s_mov_b64 s[18:19], 0
	s_mov_b64 s[20:21], 0
.LBB3_696:                              ;   Parent Loop BB3_672 Depth=1
                                        ; =>  This Inner Loop Header: Depth=2
	s_add_u32 s24, s4, s20
	s_addc_u32 s25, s5, s21
	s_add_u32 s20, s20, 1
	global_load_ubyte v4, v6, s[24:25]
	s_addc_u32 s21, s21, 0
	s_waitcnt vmcnt(0)
	v_and_b32_e32 v5, 0xffff, v4
	v_lshlrev_b64 v[4:5], s18, v[5:6]
	s_add_u32 s18, s18, 8
	s_addc_u32 s19, s19, 0
	s_cmp_lg_u32 s23, s20
	v_or_b32_e32 v17, v4, v17
	v_or_b32_e32 v18, v5, v18
	s_cbranch_scc1 .LBB3_696
.LBB3_697:                              ;   in Loop: Header=BB3_672 Depth=1
	s_mov_b32 s24, 0
	s_cbranch_execz .LBB3_699
	s_branch .LBB3_700
.LBB3_698:                              ;   in Loop: Header=BB3_672 Depth=1
                                        ; implicit-def: $vgpr17_vgpr18
                                        ; implicit-def: $sgpr24
.LBB3_699:                              ;   in Loop: Header=BB3_672 Depth=1
	global_load_dwordx2 v[17:18], v6, s[4:5]
	s_add_i32 s24, s23, -8
	s_add_u32 s4, s4, 8
	s_addc_u32 s5, s5, 0
.LBB3_700:                              ;   in Loop: Header=BB3_672 Depth=1
	s_cmp_gt_u32 s24, 7
	s_cbranch_scc1 .LBB3_705
; %bb.701:                              ;   in Loop: Header=BB3_672 Depth=1
	v_mov_b32_e32 v19, 0
	v_mov_b32_e32 v20, 0
	s_cmp_eq_u32 s24, 0
	s_cbranch_scc1 .LBB3_704
; %bb.702:                              ;   in Loop: Header=BB3_672 Depth=1
	s_mov_b64 s[18:19], 0
	s_mov_b64 s[20:21], 0
.LBB3_703:                              ;   Parent Loop BB3_672 Depth=1
                                        ; =>  This Inner Loop Header: Depth=2
	s_add_u32 vcc_lo, s4, s20
	s_addc_u32 vcc_hi, s5, s21
	s_add_u32 s20, s20, 1
	global_load_ubyte v4, v6, vcc
	s_addc_u32 s21, s21, 0
	s_waitcnt vmcnt(0)
	v_and_b32_e32 v5, 0xffff, v4
	v_lshlrev_b64 v[4:5], s18, v[5:6]
	s_add_u32 s18, s18, 8
	s_addc_u32 s19, s19, 0
	s_cmp_lg_u32 s24, s20
	v_or_b32_e32 v19, v4, v19
	v_or_b32_e32 v20, v5, v20
	s_cbranch_scc1 .LBB3_703
.LBB3_704:                              ;   in Loop: Header=BB3_672 Depth=1
	s_mov_b32 s23, 0
	s_cbranch_execz .LBB3_706
	s_branch .LBB3_707
.LBB3_705:                              ;   in Loop: Header=BB3_672 Depth=1
                                        ; implicit-def: $sgpr23
.LBB3_706:                              ;   in Loop: Header=BB3_672 Depth=1
	global_load_dwordx2 v[19:20], v6, s[4:5]
	s_add_i32 s23, s24, -8
	s_add_u32 s4, s4, 8
	s_addc_u32 s5, s5, 0
.LBB3_707:                              ;   in Loop: Header=BB3_672 Depth=1
	s_cmp_gt_u32 s23, 7
	s_cbranch_scc1 .LBB3_712
; %bb.708:                              ;   in Loop: Header=BB3_672 Depth=1
	v_mov_b32_e32 v21, 0
	v_mov_b32_e32 v22, 0
	s_cmp_eq_u32 s23, 0
	s_cbranch_scc1 .LBB3_711
; %bb.709:                              ;   in Loop: Header=BB3_672 Depth=1
	s_mov_b64 s[18:19], 0
	s_mov_b64 s[20:21], 0
.LBB3_710:                              ;   Parent Loop BB3_672 Depth=1
                                        ; =>  This Inner Loop Header: Depth=2
	s_add_u32 s24, s4, s20
	s_addc_u32 s25, s5, s21
	s_add_u32 s20, s20, 1
	global_load_ubyte v4, v6, s[24:25]
	s_addc_u32 s21, s21, 0
	s_waitcnt vmcnt(0)
	v_and_b32_e32 v5, 0xffff, v4
	v_lshlrev_b64 v[4:5], s18, v[5:6]
	s_add_u32 s18, s18, 8
	s_addc_u32 s19, s19, 0
	s_cmp_lg_u32 s23, s20
	v_or_b32_e32 v21, v4, v21
	v_or_b32_e32 v22, v5, v22
	s_cbranch_scc1 .LBB3_710
.LBB3_711:                              ;   in Loop: Header=BB3_672 Depth=1
	s_mov_b32 s24, 0
	s_cbranch_execz .LBB3_713
	s_branch .LBB3_714
.LBB3_712:                              ;   in Loop: Header=BB3_672 Depth=1
                                        ; implicit-def: $vgpr21_vgpr22
                                        ; implicit-def: $sgpr24
.LBB3_713:                              ;   in Loop: Header=BB3_672 Depth=1
	global_load_dwordx2 v[21:22], v6, s[4:5]
	s_add_i32 s24, s23, -8
	s_add_u32 s4, s4, 8
	s_addc_u32 s5, s5, 0
.LBB3_714:                              ;   in Loop: Header=BB3_672 Depth=1
	s_cmp_gt_u32 s24, 7
	s_cbranch_scc1 .LBB3_719
; %bb.715:                              ;   in Loop: Header=BB3_672 Depth=1
	v_mov_b32_e32 v23, 0
	v_mov_b32_e32 v24, 0
	s_cmp_eq_u32 s24, 0
	s_cbranch_scc1 .LBB3_718
; %bb.716:                              ;   in Loop: Header=BB3_672 Depth=1
	s_mov_b64 s[18:19], 0
	s_mov_b64 s[20:21], s[4:5]
.LBB3_717:                              ;   Parent Loop BB3_672 Depth=1
                                        ; =>  This Inner Loop Header: Depth=2
	global_load_ubyte v4, v6, s[20:21]
	s_add_i32 s24, s24, -1
	s_waitcnt vmcnt(0)
	v_and_b32_e32 v5, 0xffff, v4
	v_lshlrev_b64 v[4:5], s18, v[5:6]
	s_add_u32 s18, s18, 8
	s_addc_u32 s19, s19, 0
	s_add_u32 s20, s20, 1
	s_addc_u32 s21, s21, 0
	s_cmp_lg_u32 s24, 0
	v_or_b32_e32 v23, v4, v23
	v_or_b32_e32 v24, v5, v24
	s_cbranch_scc1 .LBB3_717
.LBB3_718:                              ;   in Loop: Header=BB3_672 Depth=1
	s_cbranch_execz .LBB3_720
	s_branch .LBB3_721
.LBB3_719:                              ;   in Loop: Header=BB3_672 Depth=1
.LBB3_720:                              ;   in Loop: Header=BB3_672 Depth=1
	global_load_dwordx2 v[23:24], v6, s[4:5]
.LBB3_721:                              ;   in Loop: Header=BB3_672 Depth=1
	v_readfirstlane_b32 s4, v39
	s_waitcnt vmcnt(0)
	v_mov_b32_e32 v4, 0
	v_mov_b32_e32 v5, 0
	v_cmp_eq_u32_e64 s4, s4, v39
	s_and_saveexec_b32 s5, s4
	s_cbranch_execz .LBB3_727
; %bb.722:                              ;   in Loop: Header=BB3_672 Depth=1
	global_load_dwordx2 v[27:28], v6, s[26:27] offset:24 glc dlc
	s_waitcnt vmcnt(0)
	buffer_gl1_inv
	buffer_gl0_inv
	s_clause 0x1
	global_load_dwordx2 v[4:5], v6, s[26:27] offset:40
	global_load_dwordx2 v[9:10], v6, s[26:27]
	s_mov_b32 s18, exec_lo
	s_waitcnt vmcnt(1)
	v_and_b32_e32 v5, v5, v28
	v_and_b32_e32 v4, v4, v27
	v_mul_lo_u32 v5, v5, 24
	v_mul_hi_u32 v25, v4, 24
	v_mul_lo_u32 v4, v4, 24
	v_add_nc_u32_e32 v5, v25, v5
	s_waitcnt vmcnt(0)
	v_add_co_u32 v4, vcc_lo, v9, v4
	v_add_co_ci_u32_e32 v5, vcc_lo, v10, v5, vcc_lo
	global_load_dwordx2 v[25:26], v[4:5], off glc dlc
	s_waitcnt vmcnt(0)
	global_atomic_cmpswap_x2 v[4:5], v6, v[25:28], s[26:27] offset:24 glc
	s_waitcnt vmcnt(0)
	buffer_gl1_inv
	buffer_gl0_inv
	v_cmpx_ne_u64_e64 v[4:5], v[27:28]
	s_cbranch_execz .LBB3_726
; %bb.723:                              ;   in Loop: Header=BB3_672 Depth=1
	s_mov_b32 s19, 0
	.p2align	6
.LBB3_724:                              ;   Parent Loop BB3_672 Depth=1
                                        ; =>  This Inner Loop Header: Depth=2
	s_sleep 1
	s_clause 0x1
	global_load_dwordx2 v[9:10], v6, s[26:27] offset:40
	global_load_dwordx2 v[25:26], v6, s[26:27]
	v_mov_b32_e32 v28, v5
	v_mov_b32_e32 v27, v4
	s_waitcnt vmcnt(1)
	v_and_b32_e32 v4, v9, v27
	v_and_b32_e32 v9, v10, v28
	s_waitcnt vmcnt(0)
	v_mad_u64_u32 v[4:5], null, v4, 24, v[25:26]
	v_mad_u64_u32 v[9:10], null, v9, 24, v[5:6]
	v_mov_b32_e32 v5, v9
	global_load_dwordx2 v[25:26], v[4:5], off glc dlc
	s_waitcnt vmcnt(0)
	global_atomic_cmpswap_x2 v[4:5], v6, v[25:28], s[26:27] offset:24 glc
	s_waitcnt vmcnt(0)
	buffer_gl1_inv
	buffer_gl0_inv
	v_cmp_eq_u64_e32 vcc_lo, v[4:5], v[27:28]
	s_or_b32 s19, vcc_lo, s19
	s_andn2_b32 exec_lo, exec_lo, s19
	s_cbranch_execnz .LBB3_724
; %bb.725:                              ;   in Loop: Header=BB3_672 Depth=1
	s_or_b32 exec_lo, exec_lo, s19
.LBB3_726:                              ;   in Loop: Header=BB3_672 Depth=1
	s_or_b32 exec_lo, exec_lo, s18
.LBB3_727:                              ;   in Loop: Header=BB3_672 Depth=1
	s_or_b32 exec_lo, exec_lo, s5
	s_clause 0x1
	global_load_dwordx2 v[9:10], v6, s[26:27] offset:40
	global_load_dwordx4 v[25:28], v6, s[26:27]
	v_readfirstlane_b32 s18, v4
	v_readfirstlane_b32 s19, v5
	s_mov_b32 s5, exec_lo
	s_waitcnt vmcnt(1)
	v_readfirstlane_b32 s20, v9
	v_readfirstlane_b32 s21, v10
	s_and_b64 s[20:21], s[18:19], s[20:21]
	s_mul_i32 s23, s21, 24
	s_mul_hi_u32 s24, s20, 24
	s_mul_i32 s25, s20, 24
	s_add_i32 s24, s24, s23
	s_waitcnt vmcnt(0)
	v_add_co_u32 v29, vcc_lo, v25, s25
	v_add_co_ci_u32_e32 v30, vcc_lo, s24, v26, vcc_lo
	s_and_saveexec_b32 s23, s4
	s_cbranch_execz .LBB3_729
; %bb.728:                              ;   in Loop: Header=BB3_672 Depth=1
	v_mov_b32_e32 v5, s5
	global_store_dwordx4 v[29:30], v[5:8], off offset:8
.LBB3_729:                              ;   in Loop: Header=BB3_672 Depth=1
	s_or_b32 exec_lo, exec_lo, s23
	s_lshl_b64 s[20:21], s[20:21], 12
	v_cmp_gt_u64_e64 vcc_lo, s[10:11], 56
	v_or_b32_e32 v5, v2, v31
	v_add_co_u32 v27, s5, v27, s20
	v_add_co_ci_u32_e64 v28, s5, s21, v28, s5
	s_lshl_b32 s5, s16, 2
	v_or_b32_e32 v4, 0, v3
	v_cndmask_b32_e32 v2, v5, v2, vcc_lo
	s_add_i32 s5, s5, 28
	v_readfirstlane_b32 s20, v27
	s_and_b32 s5, s5, 0x1e0
	v_cndmask_b32_e32 v10, v4, v3, vcc_lo
	v_readfirstlane_b32 s21, v28
	v_and_or_b32 v9, 0xffffff1f, v2, s5
	global_store_dwordx4 v38, v[9:12], s[20:21]
	global_store_dwordx4 v38, v[13:16], s[20:21] offset:16
	global_store_dwordx4 v38, v[17:20], s[20:21] offset:32
	;; [unrolled: 1-line block ×3, first 2 shown]
	s_and_saveexec_b32 s5, s4
	s_cbranch_execz .LBB3_737
; %bb.730:                              ;   in Loop: Header=BB3_672 Depth=1
	s_clause 0x1
	global_load_dwordx2 v[13:14], v6, s[26:27] offset:32 glc dlc
	global_load_dwordx2 v[2:3], v6, s[26:27] offset:40
	v_mov_b32_e32 v11, s18
	v_mov_b32_e32 v12, s19
	s_waitcnt vmcnt(0)
	v_readfirstlane_b32 s20, v2
	v_readfirstlane_b32 s21, v3
	s_and_b64 s[20:21], s[20:21], s[18:19]
	s_mul_i32 s21, s21, 24
	s_mul_hi_u32 s23, s20, 24
	s_mul_i32 s20, s20, 24
	s_add_i32 s23, s23, s21
	v_add_co_u32 v9, vcc_lo, v25, s20
	v_add_co_ci_u32_e32 v10, vcc_lo, s23, v26, vcc_lo
	s_mov_b32 s20, exec_lo
	global_store_dwordx2 v[9:10], v[13:14], off
	s_waitcnt_vscnt null, 0x0
	global_atomic_cmpswap_x2 v[4:5], v6, v[11:14], s[26:27] offset:32 glc
	s_waitcnt vmcnt(0)
	v_cmpx_ne_u64_e64 v[4:5], v[13:14]
	s_cbranch_execz .LBB3_733
; %bb.731:                              ;   in Loop: Header=BB3_672 Depth=1
	s_mov_b32 s21, 0
.LBB3_732:                              ;   Parent Loop BB3_672 Depth=1
                                        ; =>  This Inner Loop Header: Depth=2
	v_mov_b32_e32 v2, s18
	v_mov_b32_e32 v3, s19
	s_sleep 1
	global_store_dwordx2 v[9:10], v[4:5], off
	s_waitcnt_vscnt null, 0x0
	global_atomic_cmpswap_x2 v[2:3], v6, v[2:5], s[26:27] offset:32 glc
	s_waitcnt vmcnt(0)
	v_cmp_eq_u64_e32 vcc_lo, v[2:3], v[4:5]
	v_mov_b32_e32 v5, v3
	v_mov_b32_e32 v4, v2
	s_or_b32 s21, vcc_lo, s21
	s_andn2_b32 exec_lo, exec_lo, s21
	s_cbranch_execnz .LBB3_732
.LBB3_733:                              ;   in Loop: Header=BB3_672 Depth=1
	s_or_b32 exec_lo, exec_lo, s20
	global_load_dwordx2 v[2:3], v6, s[26:27] offset:16
	s_mov_b32 s21, exec_lo
	s_mov_b32 s20, exec_lo
	v_mbcnt_lo_u32_b32 v4, s21, 0
	v_cmpx_eq_u32_e32 0, v4
	s_cbranch_execz .LBB3_735
; %bb.734:                              ;   in Loop: Header=BB3_672 Depth=1
	s_bcnt1_i32_b32 s21, s21
	v_mov_b32_e32 v5, s21
	s_waitcnt vmcnt(0)
	global_atomic_add_x2 v[2:3], v[5:6], off offset:8
.LBB3_735:                              ;   in Loop: Header=BB3_672 Depth=1
	s_or_b32 exec_lo, exec_lo, s20
	s_waitcnt vmcnt(0)
	global_load_dwordx2 v[9:10], v[2:3], off offset:16
	s_waitcnt vmcnt(0)
	v_cmp_eq_u64_e32 vcc_lo, 0, v[9:10]
	s_cbranch_vccnz .LBB3_737
; %bb.736:                              ;   in Loop: Header=BB3_672 Depth=1
	global_load_dword v5, v[2:3], off offset:24
	s_waitcnt vmcnt(0)
	v_and_b32_e32 v2, 0x7fffff, v5
	s_waitcnt_vscnt null, 0x0
	global_store_dwordx2 v[9:10], v[5:6], off
	v_readfirstlane_b32 m0, v2
	s_sendmsg sendmsg(MSG_INTERRUPT)
.LBB3_737:                              ;   in Loop: Header=BB3_672 Depth=1
	s_or_b32 exec_lo, exec_lo, s5
	v_add_co_u32 v2, vcc_lo, v27, v38
	v_add_co_ci_u32_e32 v3, vcc_lo, 0, v28, vcc_lo
	s_branch .LBB3_741
	.p2align	6
.LBB3_738:                              ;   in Loop: Header=BB3_741 Depth=2
	s_or_b32 exec_lo, exec_lo, s5
	v_readfirstlane_b32 s5, v4
	s_cmp_eq_u32 s5, 0
	s_cbranch_scc1 .LBB3_740
; %bb.739:                              ;   in Loop: Header=BB3_741 Depth=2
	s_sleep 1
	s_cbranch_execnz .LBB3_741
	s_branch .LBB3_743
	.p2align	6
.LBB3_740:                              ;   in Loop: Header=BB3_672 Depth=1
	s_branch .LBB3_743
.LBB3_741:                              ;   Parent Loop BB3_672 Depth=1
                                        ; =>  This Inner Loop Header: Depth=2
	v_mov_b32_e32 v4, 1
	s_and_saveexec_b32 s5, s4
	s_cbranch_execz .LBB3_738
; %bb.742:                              ;   in Loop: Header=BB3_741 Depth=2
	global_load_dword v4, v[29:30], off offset:20 glc dlc
	s_waitcnt vmcnt(0)
	buffer_gl1_inv
	buffer_gl0_inv
	v_and_b32_e32 v4, 1, v4
	s_branch .LBB3_738
.LBB3_743:                              ;   in Loop: Header=BB3_672 Depth=1
	global_load_dwordx4 v[2:5], v[2:3], off
	s_and_saveexec_b32 s5, s4
	s_cbranch_execz .LBB3_671
; %bb.744:                              ;   in Loop: Header=BB3_672 Depth=1
	s_clause 0x2
	global_load_dwordx2 v[4:5], v6, s[26:27] offset:40
	global_load_dwordx2 v[13:14], v6, s[26:27] offset:24 glc dlc
	global_load_dwordx2 v[11:12], v6, s[26:27]
	s_waitcnt vmcnt(2)
	v_add_co_u32 v15, vcc_lo, v4, 1
	v_add_co_ci_u32_e32 v16, vcc_lo, 0, v5, vcc_lo
	v_add_co_u32 v9, vcc_lo, v15, s18
	v_add_co_ci_u32_e32 v10, vcc_lo, s19, v16, vcc_lo
	v_cmp_eq_u64_e32 vcc_lo, 0, v[9:10]
	v_cndmask_b32_e32 v10, v10, v16, vcc_lo
	v_cndmask_b32_e32 v9, v9, v15, vcc_lo
	v_and_b32_e32 v5, v10, v5
	v_and_b32_e32 v4, v9, v4
	v_mul_lo_u32 v5, v5, 24
	v_mul_hi_u32 v15, v4, 24
	v_mul_lo_u32 v4, v4, 24
	v_add_nc_u32_e32 v5, v15, v5
	s_waitcnt vmcnt(0)
	v_add_co_u32 v4, vcc_lo, v11, v4
	v_mov_b32_e32 v11, v13
	v_add_co_ci_u32_e32 v5, vcc_lo, v12, v5, vcc_lo
	v_mov_b32_e32 v12, v14
	global_store_dwordx2 v[4:5], v[13:14], off
	s_waitcnt_vscnt null, 0x0
	global_atomic_cmpswap_x2 v[11:12], v6, v[9:12], s[26:27] offset:24 glc
	s_waitcnt vmcnt(0)
	v_cmp_ne_u64_e32 vcc_lo, v[11:12], v[13:14]
	s_and_b32 exec_lo, exec_lo, vcc_lo
	s_cbranch_execz .LBB3_671
; %bb.745:                              ;   in Loop: Header=BB3_672 Depth=1
	s_mov_b32 s4, 0
.LBB3_746:                              ;   Parent Loop BB3_672 Depth=1
                                        ; =>  This Inner Loop Header: Depth=2
	s_sleep 1
	global_store_dwordx2 v[4:5], v[11:12], off
	s_waitcnt_vscnt null, 0x0
	global_atomic_cmpswap_x2 v[13:14], v6, v[9:12], s[26:27] offset:24 glc
	s_waitcnt vmcnt(0)
	v_cmp_eq_u64_e32 vcc_lo, v[13:14], v[11:12]
	v_mov_b32_e32 v11, v13
	v_mov_b32_e32 v12, v14
	s_or_b32 s4, vcc_lo, s4
	s_andn2_b32 exec_lo, exec_lo, s4
	s_cbranch_execnz .LBB3_746
	s_branch .LBB3_671
.LBB3_747:
	s_branch .LBB3_776
.LBB3_748:
                                        ; implicit-def: $vgpr2_vgpr3
	s_cbranch_execz .LBB3_776
; %bb.749:
	v_readfirstlane_b32 s4, v39
	v_mov_b32_e32 v8, 0
	v_mov_b32_e32 v9, 0
	v_cmp_eq_u32_e64 s4, s4, v39
	s_and_saveexec_b32 s5, s4
	s_cbranch_execz .LBB3_755
; %bb.750:
	s_waitcnt vmcnt(0)
	v_mov_b32_e32 v2, 0
	s_mov_b32 s6, exec_lo
	global_load_dwordx2 v[5:6], v2, s[26:27] offset:24 glc dlc
	s_waitcnt vmcnt(0)
	buffer_gl1_inv
	buffer_gl0_inv
	s_clause 0x1
	global_load_dwordx2 v[3:4], v2, s[26:27] offset:40
	global_load_dwordx2 v[7:8], v2, s[26:27]
	s_waitcnt vmcnt(1)
	v_and_b32_e32 v4, v4, v6
	v_and_b32_e32 v3, v3, v5
	v_mul_lo_u32 v4, v4, 24
	v_mul_hi_u32 v9, v3, 24
	v_mul_lo_u32 v3, v3, 24
	v_add_nc_u32_e32 v4, v9, v4
	s_waitcnt vmcnt(0)
	v_add_co_u32 v3, vcc_lo, v7, v3
	v_add_co_ci_u32_e32 v4, vcc_lo, v8, v4, vcc_lo
	global_load_dwordx2 v[3:4], v[3:4], off glc dlc
	s_waitcnt vmcnt(0)
	global_atomic_cmpswap_x2 v[8:9], v2, v[3:6], s[26:27] offset:24 glc
	s_waitcnt vmcnt(0)
	buffer_gl1_inv
	buffer_gl0_inv
	v_cmpx_ne_u64_e64 v[8:9], v[5:6]
	s_cbranch_execz .LBB3_754
; %bb.751:
	s_mov_b32 s7, 0
	.p2align	6
.LBB3_752:                              ; =>This Inner Loop Header: Depth=1
	s_sleep 1
	s_clause 0x1
	global_load_dwordx2 v[3:4], v2, s[26:27] offset:40
	global_load_dwordx2 v[10:11], v2, s[26:27]
	v_mov_b32_e32 v5, v8
	v_mov_b32_e32 v6, v9
	s_waitcnt vmcnt(1)
	v_and_b32_e32 v3, v3, v5
	v_and_b32_e32 v4, v4, v6
	s_waitcnt vmcnt(0)
	v_mad_u64_u32 v[7:8], null, v3, 24, v[10:11]
	v_mov_b32_e32 v3, v8
	v_mad_u64_u32 v[3:4], null, v4, 24, v[3:4]
	v_mov_b32_e32 v8, v3
	global_load_dwordx2 v[3:4], v[7:8], off glc dlc
	s_waitcnt vmcnt(0)
	global_atomic_cmpswap_x2 v[8:9], v2, v[3:6], s[26:27] offset:24 glc
	s_waitcnt vmcnt(0)
	buffer_gl1_inv
	buffer_gl0_inv
	v_cmp_eq_u64_e32 vcc_lo, v[8:9], v[5:6]
	s_or_b32 s7, vcc_lo, s7
	s_andn2_b32 exec_lo, exec_lo, s7
	s_cbranch_execnz .LBB3_752
; %bb.753:
	s_or_b32 exec_lo, exec_lo, s7
.LBB3_754:
	s_or_b32 exec_lo, exec_lo, s6
.LBB3_755:
	s_or_b32 exec_lo, exec_lo, s5
	s_waitcnt vmcnt(0)
	v_mov_b32_e32 v2, 0
	v_readfirstlane_b32 s6, v8
	v_readfirstlane_b32 s7, v9
	s_mov_b32 s5, exec_lo
	s_clause 0x1
	global_load_dwordx2 v[10:11], v2, s[26:27] offset:40
	global_load_dwordx4 v[4:7], v2, s[26:27]
	s_waitcnt vmcnt(1)
	v_readfirstlane_b32 s10, v10
	v_readfirstlane_b32 s11, v11
	s_and_b64 s[10:11], s[6:7], s[10:11]
	s_mul_i32 s16, s11, 24
	s_mul_hi_u32 s17, s10, 24
	s_mul_i32 s18, s10, 24
	s_add_i32 s17, s17, s16
	s_waitcnt vmcnt(0)
	v_add_co_u32 v8, vcc_lo, v4, s18
	v_add_co_ci_u32_e32 v9, vcc_lo, s17, v5, vcc_lo
	s_and_saveexec_b32 s16, s4
	s_cbranch_execz .LBB3_757
; %bb.756:
	v_mov_b32_e32 v10, s5
	v_mov_b32_e32 v11, v2
	v_mov_b32_e32 v12, 2
	v_mov_b32_e32 v13, 1
	global_store_dwordx4 v[8:9], v[10:13], off offset:8
.LBB3_757:
	s_or_b32 exec_lo, exec_lo, s16
	s_lshl_b64 s[10:11], s[10:11], 12
	s_mov_b32 s16, 0
	v_add_co_u32 v6, vcc_lo, v6, s10
	v_add_co_ci_u32_e32 v7, vcc_lo, s11, v7, vcc_lo
	s_mov_b32 s17, s16
	v_readfirstlane_b32 s10, v6
	v_add_co_u32 v6, vcc_lo, v6, v38
	s_mov_b32 s18, s16
	s_mov_b32 s19, s16
	v_and_or_b32 v0, 0xffffff1f, v0, 32
	v_mov_b32_e32 v3, v2
	v_readfirstlane_b32 s11, v7
	v_mov_b32_e32 v10, s16
	v_add_co_ci_u32_e32 v7, vcc_lo, 0, v7, vcc_lo
	v_mov_b32_e32 v11, s17
	v_mov_b32_e32 v12, s18
	;; [unrolled: 1-line block ×3, first 2 shown]
	global_store_dwordx4 v38, v[0:3], s[10:11]
	global_store_dwordx4 v38, v[10:13], s[10:11] offset:16
	global_store_dwordx4 v38, v[10:13], s[10:11] offset:32
	;; [unrolled: 1-line block ×3, first 2 shown]
	s_and_saveexec_b32 s5, s4
	s_cbranch_execz .LBB3_765
; %bb.758:
	v_mov_b32_e32 v10, 0
	v_mov_b32_e32 v11, s6
	;; [unrolled: 1-line block ×3, first 2 shown]
	s_clause 0x1
	global_load_dwordx2 v[13:14], v10, s[26:27] offset:32 glc dlc
	global_load_dwordx2 v[0:1], v10, s[26:27] offset:40
	s_waitcnt vmcnt(0)
	v_readfirstlane_b32 s10, v0
	v_readfirstlane_b32 s11, v1
	s_and_b64 s[10:11], s[10:11], s[6:7]
	s_mul_i32 s11, s11, 24
	s_mul_hi_u32 s16, s10, 24
	s_mul_i32 s10, s10, 24
	s_add_i32 s16, s16, s11
	v_add_co_u32 v4, vcc_lo, v4, s10
	v_add_co_ci_u32_e32 v5, vcc_lo, s16, v5, vcc_lo
	s_mov_b32 s10, exec_lo
	global_store_dwordx2 v[4:5], v[13:14], off
	s_waitcnt_vscnt null, 0x0
	global_atomic_cmpswap_x2 v[2:3], v10, v[11:14], s[26:27] offset:32 glc
	s_waitcnt vmcnt(0)
	v_cmpx_ne_u64_e64 v[2:3], v[13:14]
	s_cbranch_execz .LBB3_761
; %bb.759:
	s_mov_b32 s11, 0
.LBB3_760:                              ; =>This Inner Loop Header: Depth=1
	v_mov_b32_e32 v0, s6
	v_mov_b32_e32 v1, s7
	s_sleep 1
	global_store_dwordx2 v[4:5], v[2:3], off
	s_waitcnt_vscnt null, 0x0
	global_atomic_cmpswap_x2 v[0:1], v10, v[0:3], s[26:27] offset:32 glc
	s_waitcnt vmcnt(0)
	v_cmp_eq_u64_e32 vcc_lo, v[0:1], v[2:3]
	v_mov_b32_e32 v3, v1
	v_mov_b32_e32 v2, v0
	s_or_b32 s11, vcc_lo, s11
	s_andn2_b32 exec_lo, exec_lo, s11
	s_cbranch_execnz .LBB3_760
.LBB3_761:
	s_or_b32 exec_lo, exec_lo, s10
	v_mov_b32_e32 v3, 0
	s_mov_b32 s11, exec_lo
	s_mov_b32 s10, exec_lo
	v_mbcnt_lo_u32_b32 v2, s11, 0
	global_load_dwordx2 v[0:1], v3, s[26:27] offset:16
	v_cmpx_eq_u32_e32 0, v2
	s_cbranch_execz .LBB3_763
; %bb.762:
	s_bcnt1_i32_b32 s11, s11
	v_mov_b32_e32 v2, s11
	s_waitcnt vmcnt(0)
	global_atomic_add_x2 v[0:1], v[2:3], off offset:8
.LBB3_763:
	s_or_b32 exec_lo, exec_lo, s10
	s_waitcnt vmcnt(0)
	global_load_dwordx2 v[2:3], v[0:1], off offset:16
	s_waitcnt vmcnt(0)
	v_cmp_eq_u64_e32 vcc_lo, 0, v[2:3]
	s_cbranch_vccnz .LBB3_765
; %bb.764:
	global_load_dword v0, v[0:1], off offset:24
	v_mov_b32_e32 v1, 0
	s_waitcnt vmcnt(0)
	v_and_b32_e32 v4, 0x7fffff, v0
	s_waitcnt_vscnt null, 0x0
	global_store_dwordx2 v[2:3], v[0:1], off
	v_readfirstlane_b32 m0, v4
	s_sendmsg sendmsg(MSG_INTERRUPT)
.LBB3_765:
	s_or_b32 exec_lo, exec_lo, s5
	s_branch .LBB3_769
	.p2align	6
.LBB3_766:                              ;   in Loop: Header=BB3_769 Depth=1
	s_or_b32 exec_lo, exec_lo, s5
	v_readfirstlane_b32 s5, v0
	s_cmp_eq_u32 s5, 0
	s_cbranch_scc1 .LBB3_768
; %bb.767:                              ;   in Loop: Header=BB3_769 Depth=1
	s_sleep 1
	s_cbranch_execnz .LBB3_769
	s_branch .LBB3_771
	.p2align	6
.LBB3_768:
	s_branch .LBB3_771
.LBB3_769:                              ; =>This Inner Loop Header: Depth=1
	v_mov_b32_e32 v0, 1
	s_and_saveexec_b32 s5, s4
	s_cbranch_execz .LBB3_766
; %bb.770:                              ;   in Loop: Header=BB3_769 Depth=1
	global_load_dword v0, v[8:9], off offset:20 glc dlc
	s_waitcnt vmcnt(0)
	buffer_gl1_inv
	buffer_gl0_inv
	v_and_b32_e32 v0, 1, v0
	s_branch .LBB3_766
.LBB3_771:
	global_load_dwordx2 v[2:3], v[6:7], off
	s_and_saveexec_b32 s5, s4
	s_cbranch_execz .LBB3_775
; %bb.772:
	v_mov_b32_e32 v8, 0
	s_clause 0x2
	global_load_dwordx2 v[0:1], v8, s[26:27] offset:40
	global_load_dwordx2 v[9:10], v8, s[26:27] offset:24 glc dlc
	global_load_dwordx2 v[6:7], v8, s[26:27]
	s_waitcnt vmcnt(2)
	v_add_co_u32 v11, vcc_lo, v0, 1
	v_add_co_ci_u32_e32 v12, vcc_lo, 0, v1, vcc_lo
	v_add_co_u32 v4, vcc_lo, v11, s6
	v_add_co_ci_u32_e32 v5, vcc_lo, s7, v12, vcc_lo
	v_cmp_eq_u64_e32 vcc_lo, 0, v[4:5]
	v_cndmask_b32_e32 v5, v5, v12, vcc_lo
	v_cndmask_b32_e32 v4, v4, v11, vcc_lo
	v_and_b32_e32 v1, v5, v1
	v_and_b32_e32 v0, v4, v0
	v_mul_lo_u32 v1, v1, 24
	v_mul_hi_u32 v11, v0, 24
	v_mul_lo_u32 v0, v0, 24
	v_add_nc_u32_e32 v1, v11, v1
	s_waitcnt vmcnt(0)
	v_add_co_u32 v0, vcc_lo, v6, v0
	v_mov_b32_e32 v6, v9
	v_add_co_ci_u32_e32 v1, vcc_lo, v7, v1, vcc_lo
	v_mov_b32_e32 v7, v10
	global_store_dwordx2 v[0:1], v[9:10], off
	s_waitcnt_vscnt null, 0x0
	global_atomic_cmpswap_x2 v[6:7], v8, v[4:7], s[26:27] offset:24 glc
	s_waitcnt vmcnt(0)
	v_cmp_ne_u64_e32 vcc_lo, v[6:7], v[9:10]
	s_and_b32 exec_lo, exec_lo, vcc_lo
	s_cbranch_execz .LBB3_775
; %bb.773:
	s_mov_b32 s4, 0
.LBB3_774:                              ; =>This Inner Loop Header: Depth=1
	s_sleep 1
	global_store_dwordx2 v[0:1], v[6:7], off
	s_waitcnt_vscnt null, 0x0
	global_atomic_cmpswap_x2 v[9:10], v8, v[4:7], s[26:27] offset:24 glc
	s_waitcnt vmcnt(0)
	v_cmp_eq_u64_e32 vcc_lo, v[9:10], v[6:7]
	v_mov_b32_e32 v6, v9
	v_mov_b32_e32 v7, v10
	s_or_b32 s4, vcc_lo, s4
	s_andn2_b32 exec_lo, exec_lo, s4
	s_cbranch_execnz .LBB3_774
.LBB3_775:
	s_or_b32 exec_lo, exec_lo, s5
.LBB3_776:
	v_readfirstlane_b32 s4, v39
	s_waitcnt vmcnt(0)
	v_mov_b32_e32 v0, 0
	v_mov_b32_e32 v1, 0
	v_cmp_eq_u32_e64 s4, s4, v39
	s_and_saveexec_b32 s5, s4
	s_cbranch_execz .LBB3_782
; %bb.777:
	v_mov_b32_e32 v4, 0
	s_mov_b32 s6, exec_lo
	global_load_dwordx2 v[7:8], v4, s[26:27] offset:24 glc dlc
	s_waitcnt vmcnt(0)
	buffer_gl1_inv
	buffer_gl0_inv
	s_clause 0x1
	global_load_dwordx2 v[0:1], v4, s[26:27] offset:40
	global_load_dwordx2 v[5:6], v4, s[26:27]
	s_waitcnt vmcnt(1)
	v_and_b32_e32 v1, v1, v8
	v_and_b32_e32 v0, v0, v7
	v_mul_lo_u32 v1, v1, 24
	v_mul_hi_u32 v9, v0, 24
	v_mul_lo_u32 v0, v0, 24
	v_add_nc_u32_e32 v1, v9, v1
	s_waitcnt vmcnt(0)
	v_add_co_u32 v0, vcc_lo, v5, v0
	v_add_co_ci_u32_e32 v1, vcc_lo, v6, v1, vcc_lo
	global_load_dwordx2 v[5:6], v[0:1], off glc dlc
	s_waitcnt vmcnt(0)
	global_atomic_cmpswap_x2 v[0:1], v4, v[5:8], s[26:27] offset:24 glc
	s_waitcnt vmcnt(0)
	buffer_gl1_inv
	buffer_gl0_inv
	v_cmpx_ne_u64_e64 v[0:1], v[7:8]
	s_cbranch_execz .LBB3_781
; %bb.778:
	s_mov_b32 s7, 0
	.p2align	6
.LBB3_779:                              ; =>This Inner Loop Header: Depth=1
	s_sleep 1
	s_clause 0x1
	global_load_dwordx2 v[5:6], v4, s[26:27] offset:40
	global_load_dwordx2 v[9:10], v4, s[26:27]
	v_mov_b32_e32 v8, v1
	v_mov_b32_e32 v7, v0
	s_waitcnt vmcnt(1)
	v_and_b32_e32 v0, v5, v7
	v_and_b32_e32 v5, v6, v8
	s_waitcnt vmcnt(0)
	v_mad_u64_u32 v[0:1], null, v0, 24, v[9:10]
	v_mad_u64_u32 v[5:6], null, v5, 24, v[1:2]
	v_mov_b32_e32 v1, v5
	global_load_dwordx2 v[5:6], v[0:1], off glc dlc
	s_waitcnt vmcnt(0)
	global_atomic_cmpswap_x2 v[0:1], v4, v[5:8], s[26:27] offset:24 glc
	s_waitcnt vmcnt(0)
	buffer_gl1_inv
	buffer_gl0_inv
	v_cmp_eq_u64_e32 vcc_lo, v[0:1], v[7:8]
	s_or_b32 s7, vcc_lo, s7
	s_andn2_b32 exec_lo, exec_lo, s7
	s_cbranch_execnz .LBB3_779
; %bb.780:
	s_or_b32 exec_lo, exec_lo, s7
.LBB3_781:
	s_or_b32 exec_lo, exec_lo, s6
.LBB3_782:
	s_or_b32 exec_lo, exec_lo, s5
	v_mov_b32_e32 v5, 0
	v_readfirstlane_b32 s6, v0
	v_readfirstlane_b32 s7, v1
	s_mov_b32 s5, exec_lo
	s_clause 0x1
	global_load_dwordx2 v[10:11], v5, s[26:27] offset:40
	global_load_dwordx4 v[6:9], v5, s[26:27]
	s_waitcnt vmcnt(1)
	v_readfirstlane_b32 s10, v10
	v_readfirstlane_b32 s11, v11
	s_and_b64 s[10:11], s[6:7], s[10:11]
	s_mul_i32 s16, s11, 24
	s_mul_hi_u32 s17, s10, 24
	s_mul_i32 s18, s10, 24
	s_add_i32 s17, s17, s16
	s_waitcnt vmcnt(0)
	v_add_co_u32 v10, vcc_lo, v6, s18
	v_add_co_ci_u32_e32 v11, vcc_lo, s17, v7, vcc_lo
	s_and_saveexec_b32 s16, s4
	s_cbranch_execz .LBB3_784
; %bb.783:
	v_mov_b32_e32 v4, s5
	v_mov_b32_e32 v13, v5
	;; [unrolled: 1-line block ×5, first 2 shown]
	global_store_dwordx4 v[10:11], v[12:15], off offset:8
.LBB3_784:
	s_or_b32 exec_lo, exec_lo, s16
	s_lshl_b64 s[10:11], s[10:11], 12
	s_mov_b32 s16, 0
	v_add_co_u32 v0, vcc_lo, v8, s10
	v_add_co_ci_u32_e32 v1, vcc_lo, s11, v9, vcc_lo
	s_mov_b32 s17, s16
	s_mov_b32 s18, s16
	;; [unrolled: 1-line block ×3, first 2 shown]
	v_and_or_b32 v2, 0xffffff1d, v2, 34
	v_mov_b32_e32 v4, 58
	v_readfirstlane_b32 s10, v0
	v_readfirstlane_b32 s11, v1
	v_mov_b32_e32 v12, s16
	v_mov_b32_e32 v13, s17
	v_mov_b32_e32 v14, s18
	v_mov_b32_e32 v15, s19
	global_store_dwordx4 v38, v[2:5], s[10:11]
	global_store_dwordx4 v38, v[12:15], s[10:11] offset:16
	global_store_dwordx4 v38, v[12:15], s[10:11] offset:32
	;; [unrolled: 1-line block ×3, first 2 shown]
	s_and_saveexec_b32 s5, s4
	s_cbranch_execz .LBB3_792
; %bb.785:
	v_mov_b32_e32 v8, 0
	v_mov_b32_e32 v12, s6
	;; [unrolled: 1-line block ×3, first 2 shown]
	s_clause 0x1
	global_load_dwordx2 v[14:15], v8, s[26:27] offset:32 glc dlc
	global_load_dwordx2 v[0:1], v8, s[26:27] offset:40
	s_waitcnt vmcnt(0)
	v_readfirstlane_b32 s10, v0
	v_readfirstlane_b32 s11, v1
	s_and_b64 s[10:11], s[10:11], s[6:7]
	s_mul_i32 s11, s11, 24
	s_mul_hi_u32 s16, s10, 24
	s_mul_i32 s10, s10, 24
	s_add_i32 s16, s16, s11
	v_add_co_u32 v4, vcc_lo, v6, s10
	v_add_co_ci_u32_e32 v5, vcc_lo, s16, v7, vcc_lo
	s_mov_b32 s10, exec_lo
	global_store_dwordx2 v[4:5], v[14:15], off
	s_waitcnt_vscnt null, 0x0
	global_atomic_cmpswap_x2 v[2:3], v8, v[12:15], s[26:27] offset:32 glc
	s_waitcnt vmcnt(0)
	v_cmpx_ne_u64_e64 v[2:3], v[14:15]
	s_cbranch_execz .LBB3_788
; %bb.786:
	s_mov_b32 s11, 0
.LBB3_787:                              ; =>This Inner Loop Header: Depth=1
	v_mov_b32_e32 v0, s6
	v_mov_b32_e32 v1, s7
	s_sleep 1
	global_store_dwordx2 v[4:5], v[2:3], off
	s_waitcnt_vscnt null, 0x0
	global_atomic_cmpswap_x2 v[0:1], v8, v[0:3], s[26:27] offset:32 glc
	s_waitcnt vmcnt(0)
	v_cmp_eq_u64_e32 vcc_lo, v[0:1], v[2:3]
	v_mov_b32_e32 v3, v1
	v_mov_b32_e32 v2, v0
	s_or_b32 s11, vcc_lo, s11
	s_andn2_b32 exec_lo, exec_lo, s11
	s_cbranch_execnz .LBB3_787
.LBB3_788:
	s_or_b32 exec_lo, exec_lo, s10
	v_mov_b32_e32 v3, 0
	s_mov_b32 s11, exec_lo
	s_mov_b32 s10, exec_lo
	v_mbcnt_lo_u32_b32 v2, s11, 0
	global_load_dwordx2 v[0:1], v3, s[26:27] offset:16
	v_cmpx_eq_u32_e32 0, v2
	s_cbranch_execz .LBB3_790
; %bb.789:
	s_bcnt1_i32_b32 s11, s11
	v_mov_b32_e32 v2, s11
	s_waitcnt vmcnt(0)
	global_atomic_add_x2 v[0:1], v[2:3], off offset:8
.LBB3_790:
	s_or_b32 exec_lo, exec_lo, s10
	s_waitcnt vmcnt(0)
	global_load_dwordx2 v[2:3], v[0:1], off offset:16
	s_waitcnt vmcnt(0)
	v_cmp_eq_u64_e32 vcc_lo, 0, v[2:3]
	s_cbranch_vccnz .LBB3_792
; %bb.791:
	global_load_dword v0, v[0:1], off offset:24
	v_mov_b32_e32 v1, 0
	s_waitcnt vmcnt(0)
	v_and_b32_e32 v4, 0x7fffff, v0
	s_waitcnt_vscnt null, 0x0
	global_store_dwordx2 v[2:3], v[0:1], off
	v_readfirstlane_b32 m0, v4
	s_sendmsg sendmsg(MSG_INTERRUPT)
.LBB3_792:
	s_or_b32 exec_lo, exec_lo, s5
	s_branch .LBB3_796
	.p2align	6
.LBB3_793:                              ;   in Loop: Header=BB3_796 Depth=1
	s_or_b32 exec_lo, exec_lo, s5
	v_readfirstlane_b32 s5, v0
	s_cmp_eq_u32 s5, 0
	s_cbranch_scc1 .LBB3_795
; %bb.794:                              ;   in Loop: Header=BB3_796 Depth=1
	s_sleep 1
	s_cbranch_execnz .LBB3_796
	s_branch .LBB3_798
	.p2align	6
.LBB3_795:
	s_branch .LBB3_798
.LBB3_796:                              ; =>This Inner Loop Header: Depth=1
	v_mov_b32_e32 v0, 1
	s_and_saveexec_b32 s5, s4
	s_cbranch_execz .LBB3_793
; %bb.797:                              ;   in Loop: Header=BB3_796 Depth=1
	global_load_dword v0, v[10:11], off offset:20 glc dlc
	s_waitcnt vmcnt(0)
	buffer_gl1_inv
	buffer_gl0_inv
	v_and_b32_e32 v0, 1, v0
	s_branch .LBB3_793
.LBB3_798:
	s_and_saveexec_b32 s5, s4
	s_cbranch_execz .LBB3_802
; %bb.799:
	v_mov_b32_e32 v6, 0
	s_clause 0x2
	global_load_dwordx2 v[2:3], v6, s[26:27] offset:40
	global_load_dwordx2 v[7:8], v6, s[26:27] offset:24 glc dlc
	global_load_dwordx2 v[4:5], v6, s[26:27]
	s_waitcnt vmcnt(2)
	v_add_co_u32 v9, vcc_lo, v2, 1
	v_add_co_ci_u32_e32 v10, vcc_lo, 0, v3, vcc_lo
	v_add_co_u32 v0, vcc_lo, v9, s6
	v_add_co_ci_u32_e32 v1, vcc_lo, s7, v10, vcc_lo
	v_cmp_eq_u64_e32 vcc_lo, 0, v[0:1]
	v_cndmask_b32_e32 v1, v1, v10, vcc_lo
	v_cndmask_b32_e32 v0, v0, v9, vcc_lo
	v_and_b32_e32 v3, v1, v3
	v_and_b32_e32 v2, v0, v2
	v_mul_lo_u32 v3, v3, 24
	v_mul_hi_u32 v9, v2, 24
	v_mul_lo_u32 v2, v2, 24
	v_add_nc_u32_e32 v3, v9, v3
	s_waitcnt vmcnt(0)
	v_add_co_u32 v4, vcc_lo, v4, v2
	v_mov_b32_e32 v2, v7
	v_add_co_ci_u32_e32 v5, vcc_lo, v5, v3, vcc_lo
	v_mov_b32_e32 v3, v8
	global_store_dwordx2 v[4:5], v[7:8], off
	s_waitcnt_vscnt null, 0x0
	global_atomic_cmpswap_x2 v[2:3], v6, v[0:3], s[26:27] offset:24 glc
	s_waitcnt vmcnt(0)
	v_cmp_ne_u64_e32 vcc_lo, v[2:3], v[7:8]
	s_and_b32 exec_lo, exec_lo, vcc_lo
	s_cbranch_execz .LBB3_802
; %bb.800:
	s_mov_b32 s4, 0
.LBB3_801:                              ; =>This Inner Loop Header: Depth=1
	s_sleep 1
	global_store_dwordx2 v[4:5], v[2:3], off
	s_waitcnt_vscnt null, 0x0
	global_atomic_cmpswap_x2 v[7:8], v6, v[0:3], s[26:27] offset:24 glc
	s_waitcnt vmcnt(0)
	v_cmp_eq_u64_e32 vcc_lo, v[7:8], v[2:3]
	v_mov_b32_e32 v2, v7
	v_mov_b32_e32 v3, v8
	s_or_b32 s4, vcc_lo, s4
	s_andn2_b32 exec_lo, exec_lo, s4
	s_cbranch_execnz .LBB3_801
.LBB3_802:
	s_or_b32 exec_lo, exec_lo, s5
	v_readfirstlane_b32 s4, v39
	v_mov_b32_e32 v6, 0
	v_mov_b32_e32 v7, 0
	v_cmp_eq_u32_e64 s4, s4, v39
	s_and_saveexec_b32 s5, s4
	s_cbranch_execz .LBB3_808
; %bb.803:
	v_mov_b32_e32 v0, 0
	s_mov_b32 s6, exec_lo
	global_load_dwordx2 v[3:4], v0, s[26:27] offset:24 glc dlc
	s_waitcnt vmcnt(0)
	buffer_gl1_inv
	buffer_gl0_inv
	s_clause 0x1
	global_load_dwordx2 v[1:2], v0, s[26:27] offset:40
	global_load_dwordx2 v[5:6], v0, s[26:27]
	s_waitcnt vmcnt(1)
	v_and_b32_e32 v2, v2, v4
	v_and_b32_e32 v1, v1, v3
	v_mul_lo_u32 v2, v2, 24
	v_mul_hi_u32 v7, v1, 24
	v_mul_lo_u32 v1, v1, 24
	v_add_nc_u32_e32 v2, v7, v2
	s_waitcnt vmcnt(0)
	v_add_co_u32 v1, vcc_lo, v5, v1
	v_add_co_ci_u32_e32 v2, vcc_lo, v6, v2, vcc_lo
	global_load_dwordx2 v[1:2], v[1:2], off glc dlc
	s_waitcnt vmcnt(0)
	global_atomic_cmpswap_x2 v[6:7], v0, v[1:4], s[26:27] offset:24 glc
	s_waitcnt vmcnt(0)
	buffer_gl1_inv
	buffer_gl0_inv
	v_cmpx_ne_u64_e64 v[6:7], v[3:4]
	s_cbranch_execz .LBB3_807
; %bb.804:
	s_mov_b32 s7, 0
	.p2align	6
.LBB3_805:                              ; =>This Inner Loop Header: Depth=1
	s_sleep 1
	s_clause 0x1
	global_load_dwordx2 v[1:2], v0, s[26:27] offset:40
	global_load_dwordx2 v[8:9], v0, s[26:27]
	v_mov_b32_e32 v3, v6
	v_mov_b32_e32 v4, v7
	s_waitcnt vmcnt(1)
	v_and_b32_e32 v1, v1, v3
	v_and_b32_e32 v2, v2, v4
	s_waitcnt vmcnt(0)
	v_mad_u64_u32 v[5:6], null, v1, 24, v[8:9]
	v_mov_b32_e32 v1, v6
	v_mad_u64_u32 v[1:2], null, v2, 24, v[1:2]
	v_mov_b32_e32 v6, v1
	global_load_dwordx2 v[1:2], v[5:6], off glc dlc
	s_waitcnt vmcnt(0)
	global_atomic_cmpswap_x2 v[6:7], v0, v[1:4], s[26:27] offset:24 glc
	s_waitcnt vmcnt(0)
	buffer_gl1_inv
	buffer_gl0_inv
	v_cmp_eq_u64_e32 vcc_lo, v[6:7], v[3:4]
	s_or_b32 s7, vcc_lo, s7
	s_andn2_b32 exec_lo, exec_lo, s7
	s_cbranch_execnz .LBB3_805
; %bb.806:
	s_or_b32 exec_lo, exec_lo, s7
.LBB3_807:
	s_or_b32 exec_lo, exec_lo, s6
.LBB3_808:
	s_or_b32 exec_lo, exec_lo, s5
	v_mov_b32_e32 v5, 0
	v_readfirstlane_b32 s6, v6
	v_readfirstlane_b32 s7, v7
	s_mov_b32 s5, exec_lo
	s_clause 0x1
	global_load_dwordx2 v[8:9], v5, s[26:27] offset:40
	global_load_dwordx4 v[0:3], v5, s[26:27]
	s_waitcnt vmcnt(1)
	v_readfirstlane_b32 s10, v8
	v_readfirstlane_b32 s11, v9
	s_and_b64 s[10:11], s[6:7], s[10:11]
	s_mul_i32 s16, s11, 24
	s_mul_hi_u32 s17, s10, 24
	s_mul_i32 s18, s10, 24
	s_add_i32 s17, s17, s16
	s_waitcnt vmcnt(0)
	v_add_co_u32 v8, vcc_lo, v0, s18
	v_add_co_ci_u32_e32 v9, vcc_lo, s17, v1, vcc_lo
	s_and_saveexec_b32 s16, s4
	s_cbranch_execz .LBB3_810
; %bb.809:
	v_mov_b32_e32 v4, s5
	v_mov_b32_e32 v6, 2
	;; [unrolled: 1-line block ×3, first 2 shown]
	global_store_dwordx4 v[8:9], v[4:7], off offset:8
.LBB3_810:
	s_or_b32 exec_lo, exec_lo, s16
	s_lshl_b64 s[10:11], s[10:11], 12
	s_mov_b32 s16, 0
	v_add_co_u32 v2, vcc_lo, v2, s10
	v_add_co_ci_u32_e32 v3, vcc_lo, s11, v3, vcc_lo
	s_mov_b32 s17, s16
	v_add_co_u32 v10, vcc_lo, v2, v38
	s_mov_b32 s18, s16
	s_mov_b32 s19, s16
	v_mov_b32_e32 v4, 33
	v_mov_b32_e32 v6, v5
	;; [unrolled: 1-line block ×3, first 2 shown]
	v_readfirstlane_b32 s10, v2
	v_readfirstlane_b32 s11, v3
	v_mov_b32_e32 v12, s16
	v_add_co_ci_u32_e32 v11, vcc_lo, 0, v3, vcc_lo
	v_mov_b32_e32 v13, s17
	v_mov_b32_e32 v14, s18
	;; [unrolled: 1-line block ×3, first 2 shown]
	global_store_dwordx4 v38, v[4:7], s[10:11]
	global_store_dwordx4 v38, v[12:15], s[10:11] offset:16
	global_store_dwordx4 v38, v[12:15], s[10:11] offset:32
	;; [unrolled: 1-line block ×3, first 2 shown]
	s_and_saveexec_b32 s5, s4
	s_cbranch_execz .LBB3_818
; %bb.811:
	v_mov_b32_e32 v6, 0
	v_mov_b32_e32 v12, s6
	v_mov_b32_e32 v13, s7
	s_clause 0x1
	global_load_dwordx2 v[14:15], v6, s[26:27] offset:32 glc dlc
	global_load_dwordx2 v[2:3], v6, s[26:27] offset:40
	s_waitcnt vmcnt(0)
	v_readfirstlane_b32 s10, v2
	v_readfirstlane_b32 s11, v3
	s_and_b64 s[10:11], s[10:11], s[6:7]
	s_mul_i32 s11, s11, 24
	s_mul_hi_u32 s16, s10, 24
	s_mul_i32 s10, s10, 24
	s_add_i32 s16, s16, s11
	v_add_co_u32 v4, vcc_lo, v0, s10
	v_add_co_ci_u32_e32 v5, vcc_lo, s16, v1, vcc_lo
	s_mov_b32 s10, exec_lo
	global_store_dwordx2 v[4:5], v[14:15], off
	s_waitcnt_vscnt null, 0x0
	global_atomic_cmpswap_x2 v[2:3], v6, v[12:15], s[26:27] offset:32 glc
	s_waitcnt vmcnt(0)
	v_cmpx_ne_u64_e64 v[2:3], v[14:15]
	s_cbranch_execz .LBB3_814
; %bb.812:
	s_mov_b32 s11, 0
.LBB3_813:                              ; =>This Inner Loop Header: Depth=1
	v_mov_b32_e32 v0, s6
	v_mov_b32_e32 v1, s7
	s_sleep 1
	global_store_dwordx2 v[4:5], v[2:3], off
	s_waitcnt_vscnt null, 0x0
	global_atomic_cmpswap_x2 v[0:1], v6, v[0:3], s[26:27] offset:32 glc
	s_waitcnt vmcnt(0)
	v_cmp_eq_u64_e32 vcc_lo, v[0:1], v[2:3]
	v_mov_b32_e32 v3, v1
	v_mov_b32_e32 v2, v0
	s_or_b32 s11, vcc_lo, s11
	s_andn2_b32 exec_lo, exec_lo, s11
	s_cbranch_execnz .LBB3_813
.LBB3_814:
	s_or_b32 exec_lo, exec_lo, s10
	v_mov_b32_e32 v3, 0
	s_mov_b32 s11, exec_lo
	s_mov_b32 s10, exec_lo
	v_mbcnt_lo_u32_b32 v2, s11, 0
	global_load_dwordx2 v[0:1], v3, s[26:27] offset:16
	v_cmpx_eq_u32_e32 0, v2
	s_cbranch_execz .LBB3_816
; %bb.815:
	s_bcnt1_i32_b32 s11, s11
	v_mov_b32_e32 v2, s11
	s_waitcnt vmcnt(0)
	global_atomic_add_x2 v[0:1], v[2:3], off offset:8
.LBB3_816:
	s_or_b32 exec_lo, exec_lo, s10
	s_waitcnt vmcnt(0)
	global_load_dwordx2 v[2:3], v[0:1], off offset:16
	s_waitcnt vmcnt(0)
	v_cmp_eq_u64_e32 vcc_lo, 0, v[2:3]
	s_cbranch_vccnz .LBB3_818
; %bb.817:
	global_load_dword v0, v[0:1], off offset:24
	v_mov_b32_e32 v1, 0
	s_waitcnt vmcnt(0)
	v_and_b32_e32 v4, 0x7fffff, v0
	s_waitcnt_vscnt null, 0x0
	global_store_dwordx2 v[2:3], v[0:1], off
	v_readfirstlane_b32 m0, v4
	s_sendmsg sendmsg(MSG_INTERRUPT)
.LBB3_818:
	s_or_b32 exec_lo, exec_lo, s5
	s_branch .LBB3_822
	.p2align	6
.LBB3_819:                              ;   in Loop: Header=BB3_822 Depth=1
	s_or_b32 exec_lo, exec_lo, s5
	v_readfirstlane_b32 s5, v0
	s_cmp_eq_u32 s5, 0
	s_cbranch_scc1 .LBB3_821
; %bb.820:                              ;   in Loop: Header=BB3_822 Depth=1
	s_sleep 1
	s_cbranch_execnz .LBB3_822
	s_branch .LBB3_824
	.p2align	6
.LBB3_821:
	s_branch .LBB3_824
.LBB3_822:                              ; =>This Inner Loop Header: Depth=1
	v_mov_b32_e32 v0, 1
	s_and_saveexec_b32 s5, s4
	s_cbranch_execz .LBB3_819
; %bb.823:                              ;   in Loop: Header=BB3_822 Depth=1
	global_load_dword v0, v[8:9], off offset:20 glc dlc
	s_waitcnt vmcnt(0)
	buffer_gl1_inv
	buffer_gl0_inv
	v_and_b32_e32 v0, 1, v0
	s_branch .LBB3_819
.LBB3_824:
	global_load_dwordx2 v[0:1], v[10:11], off
	s_and_saveexec_b32 s5, s4
	s_cbranch_execz .LBB3_828
; %bb.825:
	v_mov_b32_e32 v8, 0
	s_clause 0x2
	global_load_dwordx2 v[4:5], v8, s[26:27] offset:40
	global_load_dwordx2 v[9:10], v8, s[26:27] offset:24 glc dlc
	global_load_dwordx2 v[6:7], v8, s[26:27]
	s_waitcnt vmcnt(2)
	v_add_co_u32 v11, vcc_lo, v4, 1
	v_add_co_ci_u32_e32 v12, vcc_lo, 0, v5, vcc_lo
	v_add_co_u32 v2, vcc_lo, v11, s6
	v_add_co_ci_u32_e32 v3, vcc_lo, s7, v12, vcc_lo
	v_cmp_eq_u64_e32 vcc_lo, 0, v[2:3]
	v_cndmask_b32_e32 v3, v3, v12, vcc_lo
	v_cndmask_b32_e32 v2, v2, v11, vcc_lo
	v_and_b32_e32 v5, v3, v5
	v_and_b32_e32 v4, v2, v4
	v_mul_lo_u32 v5, v5, 24
	v_mul_hi_u32 v11, v4, 24
	v_mul_lo_u32 v4, v4, 24
	v_add_nc_u32_e32 v5, v11, v5
	s_waitcnt vmcnt(0)
	v_add_co_u32 v6, vcc_lo, v6, v4
	v_mov_b32_e32 v4, v9
	v_add_co_ci_u32_e32 v7, vcc_lo, v7, v5, vcc_lo
	v_mov_b32_e32 v5, v10
	global_store_dwordx2 v[6:7], v[9:10], off
	s_waitcnt_vscnt null, 0x0
	global_atomic_cmpswap_x2 v[4:5], v8, v[2:5], s[26:27] offset:24 glc
	s_waitcnt vmcnt(0)
	v_cmp_ne_u64_e32 vcc_lo, v[4:5], v[9:10]
	s_and_b32 exec_lo, exec_lo, vcc_lo
	s_cbranch_execz .LBB3_828
; %bb.826:
	s_mov_b32 s4, 0
.LBB3_827:                              ; =>This Inner Loop Header: Depth=1
	s_sleep 1
	global_store_dwordx2 v[6:7], v[4:5], off
	s_waitcnt_vscnt null, 0x0
	global_atomic_cmpswap_x2 v[9:10], v8, v[2:5], s[26:27] offset:24 glc
	s_waitcnt vmcnt(0)
	v_cmp_eq_u64_e32 vcc_lo, v[9:10], v[4:5]
	v_mov_b32_e32 v4, v9
	v_mov_b32_e32 v5, v10
	s_or_b32 s4, vcc_lo, s4
	s_andn2_b32 exec_lo, exec_lo, s4
	s_cbranch_execnz .LBB3_827
.LBB3_828:
	s_or_b32 exec_lo, exec_lo, s5
	s_getpc_b64 s[6:7]
	s_add_u32 s6, s6, .str.7@rel32@lo+4
	s_addc_u32 s7, s7, .str.7@rel32@hi+12
	s_cmp_lg_u64 s[6:7], 0
	s_cbranch_scc0 .LBB3_907
; %bb.829:
	s_waitcnt vmcnt(0)
	v_and_b32_e32 v31, 2, v0
	v_mov_b32_e32 v6, 0
	v_and_b32_e32 v2, -3, v0
	v_mov_b32_e32 v3, v1
	v_mov_b32_e32 v7, 2
	;; [unrolled: 1-line block ×3, first 2 shown]
	s_mov_b64 s[10:11], 4
	s_branch .LBB3_831
.LBB3_830:                              ;   in Loop: Header=BB3_831 Depth=1
	s_or_b32 exec_lo, exec_lo, s5
	s_sub_u32 s10, s10, s16
	s_subb_u32 s11, s11, s17
	s_add_u32 s6, s6, s16
	s_addc_u32 s7, s7, s17
	s_cmp_lg_u64 s[10:11], 0
	s_cbranch_scc0 .LBB3_906
.LBB3_831:                              ; =>This Loop Header: Depth=1
                                        ;     Child Loop BB3_840 Depth 2
                                        ;     Child Loop BB3_836 Depth 2
	;; [unrolled: 1-line block ×11, first 2 shown]
	v_cmp_lt_u64_e64 s4, s[10:11], 56
	v_cmp_gt_u64_e64 s5, s[10:11], 7
                                        ; implicit-def: $vgpr11_vgpr12
                                        ; implicit-def: $sgpr23
	s_and_b32 s4, s4, exec_lo
	s_cselect_b32 s17, s11, 0
	s_cselect_b32 s16, s10, 56
	s_and_b32 vcc_lo, exec_lo, s5
	s_mov_b32 s4, -1
	s_cbranch_vccz .LBB3_838
; %bb.832:                              ;   in Loop: Header=BB3_831 Depth=1
	s_andn2_b32 vcc_lo, exec_lo, s4
	s_mov_b64 s[4:5], s[6:7]
	s_cbranch_vccz .LBB3_842
.LBB3_833:                              ;   in Loop: Header=BB3_831 Depth=1
	s_cmp_gt_u32 s23, 7
	s_cbranch_scc1 .LBB3_843
.LBB3_834:                              ;   in Loop: Header=BB3_831 Depth=1
	v_mov_b32_e32 v13, 0
	v_mov_b32_e32 v14, 0
	s_cmp_eq_u32 s23, 0
	s_cbranch_scc1 .LBB3_837
; %bb.835:                              ;   in Loop: Header=BB3_831 Depth=1
	s_mov_b64 s[18:19], 0
	s_mov_b64 s[20:21], 0
.LBB3_836:                              ;   Parent Loop BB3_831 Depth=1
                                        ; =>  This Inner Loop Header: Depth=2
	s_add_u32 s24, s4, s20
	s_addc_u32 s25, s5, s21
	s_add_u32 s20, s20, 1
	global_load_ubyte v4, v6, s[24:25]
	s_addc_u32 s21, s21, 0
	s_waitcnt vmcnt(0)
	v_and_b32_e32 v5, 0xffff, v4
	v_lshlrev_b64 v[4:5], s18, v[5:6]
	s_add_u32 s18, s18, 8
	s_addc_u32 s19, s19, 0
	s_cmp_lg_u32 s23, s20
	v_or_b32_e32 v13, v4, v13
	v_or_b32_e32 v14, v5, v14
	s_cbranch_scc1 .LBB3_836
.LBB3_837:                              ;   in Loop: Header=BB3_831 Depth=1
	s_mov_b32 s24, 0
	s_cbranch_execz .LBB3_844
	s_branch .LBB3_845
.LBB3_838:                              ;   in Loop: Header=BB3_831 Depth=1
	v_mov_b32_e32 v11, 0
	v_mov_b32_e32 v12, 0
	s_cmp_eq_u64 s[10:11], 0
	s_mov_b64 s[4:5], 0
	s_cbranch_scc1 .LBB3_841
; %bb.839:                              ;   in Loop: Header=BB3_831 Depth=1
	v_mov_b32_e32 v11, 0
	v_mov_b32_e32 v12, 0
	s_lshl_b64 s[18:19], s[16:17], 3
	s_mov_b64 s[20:21], s[6:7]
.LBB3_840:                              ;   Parent Loop BB3_831 Depth=1
                                        ; =>  This Inner Loop Header: Depth=2
	global_load_ubyte v4, v6, s[20:21]
	s_waitcnt vmcnt(0)
	v_and_b32_e32 v5, 0xffff, v4
	v_lshlrev_b64 v[4:5], s4, v[5:6]
	s_add_u32 s4, s4, 8
	s_addc_u32 s5, s5, 0
	s_add_u32 s20, s20, 1
	s_addc_u32 s21, s21, 0
	s_cmp_lg_u32 s18, s4
	v_or_b32_e32 v11, v4, v11
	v_or_b32_e32 v12, v5, v12
	s_cbranch_scc1 .LBB3_840
.LBB3_841:                              ;   in Loop: Header=BB3_831 Depth=1
	s_mov_b32 s23, 0
	s_mov_b64 s[4:5], s[6:7]
	s_cbranch_execnz .LBB3_833
.LBB3_842:                              ;   in Loop: Header=BB3_831 Depth=1
	global_load_dwordx2 v[11:12], v6, s[6:7]
	s_add_i32 s23, s16, -8
	s_add_u32 s4, s6, 8
	s_addc_u32 s5, s7, 0
	s_cmp_gt_u32 s23, 7
	s_cbranch_scc0 .LBB3_834
.LBB3_843:                              ;   in Loop: Header=BB3_831 Depth=1
                                        ; implicit-def: $vgpr13_vgpr14
                                        ; implicit-def: $sgpr24
.LBB3_844:                              ;   in Loop: Header=BB3_831 Depth=1
	global_load_dwordx2 v[13:14], v6, s[4:5]
	s_add_i32 s24, s23, -8
	s_add_u32 s4, s4, 8
	s_addc_u32 s5, s5, 0
.LBB3_845:                              ;   in Loop: Header=BB3_831 Depth=1
	s_cmp_gt_u32 s24, 7
	s_cbranch_scc1 .LBB3_850
; %bb.846:                              ;   in Loop: Header=BB3_831 Depth=1
	v_mov_b32_e32 v15, 0
	v_mov_b32_e32 v16, 0
	s_cmp_eq_u32 s24, 0
	s_cbranch_scc1 .LBB3_849
; %bb.847:                              ;   in Loop: Header=BB3_831 Depth=1
	s_mov_b64 s[18:19], 0
	s_mov_b64 s[20:21], 0
.LBB3_848:                              ;   Parent Loop BB3_831 Depth=1
                                        ; =>  This Inner Loop Header: Depth=2
	s_add_u32 vcc_lo, s4, s20
	s_addc_u32 vcc_hi, s5, s21
	s_add_u32 s20, s20, 1
	global_load_ubyte v4, v6, vcc
	s_addc_u32 s21, s21, 0
	s_waitcnt vmcnt(0)
	v_and_b32_e32 v5, 0xffff, v4
	v_lshlrev_b64 v[4:5], s18, v[5:6]
	s_add_u32 s18, s18, 8
	s_addc_u32 s19, s19, 0
	s_cmp_lg_u32 s24, s20
	v_or_b32_e32 v15, v4, v15
	v_or_b32_e32 v16, v5, v16
	s_cbranch_scc1 .LBB3_848
.LBB3_849:                              ;   in Loop: Header=BB3_831 Depth=1
	s_mov_b32 s23, 0
	s_cbranch_execz .LBB3_851
	s_branch .LBB3_852
.LBB3_850:                              ;   in Loop: Header=BB3_831 Depth=1
                                        ; implicit-def: $sgpr23
.LBB3_851:                              ;   in Loop: Header=BB3_831 Depth=1
	global_load_dwordx2 v[15:16], v6, s[4:5]
	s_add_i32 s23, s24, -8
	s_add_u32 s4, s4, 8
	s_addc_u32 s5, s5, 0
.LBB3_852:                              ;   in Loop: Header=BB3_831 Depth=1
	s_cmp_gt_u32 s23, 7
	s_cbranch_scc1 .LBB3_857
; %bb.853:                              ;   in Loop: Header=BB3_831 Depth=1
	v_mov_b32_e32 v17, 0
	v_mov_b32_e32 v18, 0
	s_cmp_eq_u32 s23, 0
	s_cbranch_scc1 .LBB3_856
; %bb.854:                              ;   in Loop: Header=BB3_831 Depth=1
	s_mov_b64 s[18:19], 0
	s_mov_b64 s[20:21], 0
.LBB3_855:                              ;   Parent Loop BB3_831 Depth=1
                                        ; =>  This Inner Loop Header: Depth=2
	s_add_u32 s24, s4, s20
	s_addc_u32 s25, s5, s21
	s_add_u32 s20, s20, 1
	global_load_ubyte v4, v6, s[24:25]
	s_addc_u32 s21, s21, 0
	s_waitcnt vmcnt(0)
	v_and_b32_e32 v5, 0xffff, v4
	v_lshlrev_b64 v[4:5], s18, v[5:6]
	s_add_u32 s18, s18, 8
	s_addc_u32 s19, s19, 0
	s_cmp_lg_u32 s23, s20
	v_or_b32_e32 v17, v4, v17
	v_or_b32_e32 v18, v5, v18
	s_cbranch_scc1 .LBB3_855
.LBB3_856:                              ;   in Loop: Header=BB3_831 Depth=1
	s_mov_b32 s24, 0
	s_cbranch_execz .LBB3_858
	s_branch .LBB3_859
.LBB3_857:                              ;   in Loop: Header=BB3_831 Depth=1
                                        ; implicit-def: $vgpr17_vgpr18
                                        ; implicit-def: $sgpr24
.LBB3_858:                              ;   in Loop: Header=BB3_831 Depth=1
	global_load_dwordx2 v[17:18], v6, s[4:5]
	s_add_i32 s24, s23, -8
	s_add_u32 s4, s4, 8
	s_addc_u32 s5, s5, 0
.LBB3_859:                              ;   in Loop: Header=BB3_831 Depth=1
	s_cmp_gt_u32 s24, 7
	s_cbranch_scc1 .LBB3_864
; %bb.860:                              ;   in Loop: Header=BB3_831 Depth=1
	v_mov_b32_e32 v19, 0
	v_mov_b32_e32 v20, 0
	s_cmp_eq_u32 s24, 0
	s_cbranch_scc1 .LBB3_863
; %bb.861:                              ;   in Loop: Header=BB3_831 Depth=1
	s_mov_b64 s[18:19], 0
	s_mov_b64 s[20:21], 0
.LBB3_862:                              ;   Parent Loop BB3_831 Depth=1
                                        ; =>  This Inner Loop Header: Depth=2
	s_add_u32 vcc_lo, s4, s20
	s_addc_u32 vcc_hi, s5, s21
	s_add_u32 s20, s20, 1
	global_load_ubyte v4, v6, vcc
	s_addc_u32 s21, s21, 0
	s_waitcnt vmcnt(0)
	v_and_b32_e32 v5, 0xffff, v4
	v_lshlrev_b64 v[4:5], s18, v[5:6]
	s_add_u32 s18, s18, 8
	s_addc_u32 s19, s19, 0
	s_cmp_lg_u32 s24, s20
	v_or_b32_e32 v19, v4, v19
	v_or_b32_e32 v20, v5, v20
	s_cbranch_scc1 .LBB3_862
.LBB3_863:                              ;   in Loop: Header=BB3_831 Depth=1
	s_mov_b32 s23, 0
	s_cbranch_execz .LBB3_865
	s_branch .LBB3_866
.LBB3_864:                              ;   in Loop: Header=BB3_831 Depth=1
                                        ; implicit-def: $sgpr23
.LBB3_865:                              ;   in Loop: Header=BB3_831 Depth=1
	global_load_dwordx2 v[19:20], v6, s[4:5]
	s_add_i32 s23, s24, -8
	s_add_u32 s4, s4, 8
	s_addc_u32 s5, s5, 0
.LBB3_866:                              ;   in Loop: Header=BB3_831 Depth=1
	s_cmp_gt_u32 s23, 7
	s_cbranch_scc1 .LBB3_871
; %bb.867:                              ;   in Loop: Header=BB3_831 Depth=1
	v_mov_b32_e32 v21, 0
	v_mov_b32_e32 v22, 0
	s_cmp_eq_u32 s23, 0
	s_cbranch_scc1 .LBB3_870
; %bb.868:                              ;   in Loop: Header=BB3_831 Depth=1
	s_mov_b64 s[18:19], 0
	s_mov_b64 s[20:21], 0
.LBB3_869:                              ;   Parent Loop BB3_831 Depth=1
                                        ; =>  This Inner Loop Header: Depth=2
	s_add_u32 s24, s4, s20
	s_addc_u32 s25, s5, s21
	s_add_u32 s20, s20, 1
	global_load_ubyte v4, v6, s[24:25]
	s_addc_u32 s21, s21, 0
	s_waitcnt vmcnt(0)
	v_and_b32_e32 v5, 0xffff, v4
	v_lshlrev_b64 v[4:5], s18, v[5:6]
	s_add_u32 s18, s18, 8
	s_addc_u32 s19, s19, 0
	s_cmp_lg_u32 s23, s20
	v_or_b32_e32 v21, v4, v21
	v_or_b32_e32 v22, v5, v22
	s_cbranch_scc1 .LBB3_869
.LBB3_870:                              ;   in Loop: Header=BB3_831 Depth=1
	s_mov_b32 s24, 0
	s_cbranch_execz .LBB3_872
	s_branch .LBB3_873
.LBB3_871:                              ;   in Loop: Header=BB3_831 Depth=1
                                        ; implicit-def: $vgpr21_vgpr22
                                        ; implicit-def: $sgpr24
.LBB3_872:                              ;   in Loop: Header=BB3_831 Depth=1
	global_load_dwordx2 v[21:22], v6, s[4:5]
	s_add_i32 s24, s23, -8
	s_add_u32 s4, s4, 8
	s_addc_u32 s5, s5, 0
.LBB3_873:                              ;   in Loop: Header=BB3_831 Depth=1
	s_cmp_gt_u32 s24, 7
	s_cbranch_scc1 .LBB3_878
; %bb.874:                              ;   in Loop: Header=BB3_831 Depth=1
	v_mov_b32_e32 v23, 0
	v_mov_b32_e32 v24, 0
	s_cmp_eq_u32 s24, 0
	s_cbranch_scc1 .LBB3_877
; %bb.875:                              ;   in Loop: Header=BB3_831 Depth=1
	s_mov_b64 s[18:19], 0
	s_mov_b64 s[20:21], s[4:5]
.LBB3_876:                              ;   Parent Loop BB3_831 Depth=1
                                        ; =>  This Inner Loop Header: Depth=2
	global_load_ubyte v4, v6, s[20:21]
	s_add_i32 s24, s24, -1
	s_waitcnt vmcnt(0)
	v_and_b32_e32 v5, 0xffff, v4
	v_lshlrev_b64 v[4:5], s18, v[5:6]
	s_add_u32 s18, s18, 8
	s_addc_u32 s19, s19, 0
	s_add_u32 s20, s20, 1
	s_addc_u32 s21, s21, 0
	s_cmp_lg_u32 s24, 0
	v_or_b32_e32 v23, v4, v23
	v_or_b32_e32 v24, v5, v24
	s_cbranch_scc1 .LBB3_876
.LBB3_877:                              ;   in Loop: Header=BB3_831 Depth=1
	s_cbranch_execz .LBB3_879
	s_branch .LBB3_880
.LBB3_878:                              ;   in Loop: Header=BB3_831 Depth=1
.LBB3_879:                              ;   in Loop: Header=BB3_831 Depth=1
	global_load_dwordx2 v[23:24], v6, s[4:5]
.LBB3_880:                              ;   in Loop: Header=BB3_831 Depth=1
	v_readfirstlane_b32 s4, v39
	s_waitcnt vmcnt(0)
	v_mov_b32_e32 v4, 0
	v_mov_b32_e32 v5, 0
	v_cmp_eq_u32_e64 s4, s4, v39
	s_and_saveexec_b32 s5, s4
	s_cbranch_execz .LBB3_886
; %bb.881:                              ;   in Loop: Header=BB3_831 Depth=1
	global_load_dwordx2 v[27:28], v6, s[26:27] offset:24 glc dlc
	s_waitcnt vmcnt(0)
	buffer_gl1_inv
	buffer_gl0_inv
	s_clause 0x1
	global_load_dwordx2 v[4:5], v6, s[26:27] offset:40
	global_load_dwordx2 v[9:10], v6, s[26:27]
	s_mov_b32 s18, exec_lo
	s_waitcnt vmcnt(1)
	v_and_b32_e32 v5, v5, v28
	v_and_b32_e32 v4, v4, v27
	v_mul_lo_u32 v5, v5, 24
	v_mul_hi_u32 v25, v4, 24
	v_mul_lo_u32 v4, v4, 24
	v_add_nc_u32_e32 v5, v25, v5
	s_waitcnt vmcnt(0)
	v_add_co_u32 v4, vcc_lo, v9, v4
	v_add_co_ci_u32_e32 v5, vcc_lo, v10, v5, vcc_lo
	global_load_dwordx2 v[25:26], v[4:5], off glc dlc
	s_waitcnt vmcnt(0)
	global_atomic_cmpswap_x2 v[4:5], v6, v[25:28], s[26:27] offset:24 glc
	s_waitcnt vmcnt(0)
	buffer_gl1_inv
	buffer_gl0_inv
	v_cmpx_ne_u64_e64 v[4:5], v[27:28]
	s_cbranch_execz .LBB3_885
; %bb.882:                              ;   in Loop: Header=BB3_831 Depth=1
	s_mov_b32 s19, 0
	.p2align	6
.LBB3_883:                              ;   Parent Loop BB3_831 Depth=1
                                        ; =>  This Inner Loop Header: Depth=2
	s_sleep 1
	s_clause 0x1
	global_load_dwordx2 v[9:10], v6, s[26:27] offset:40
	global_load_dwordx2 v[25:26], v6, s[26:27]
	v_mov_b32_e32 v28, v5
	v_mov_b32_e32 v27, v4
	s_waitcnt vmcnt(1)
	v_and_b32_e32 v4, v9, v27
	v_and_b32_e32 v9, v10, v28
	s_waitcnt vmcnt(0)
	v_mad_u64_u32 v[4:5], null, v4, 24, v[25:26]
	v_mad_u64_u32 v[9:10], null, v9, 24, v[5:6]
	v_mov_b32_e32 v5, v9
	global_load_dwordx2 v[25:26], v[4:5], off glc dlc
	s_waitcnt vmcnt(0)
	global_atomic_cmpswap_x2 v[4:5], v6, v[25:28], s[26:27] offset:24 glc
	s_waitcnt vmcnt(0)
	buffer_gl1_inv
	buffer_gl0_inv
	v_cmp_eq_u64_e32 vcc_lo, v[4:5], v[27:28]
	s_or_b32 s19, vcc_lo, s19
	s_andn2_b32 exec_lo, exec_lo, s19
	s_cbranch_execnz .LBB3_883
; %bb.884:                              ;   in Loop: Header=BB3_831 Depth=1
	s_or_b32 exec_lo, exec_lo, s19
.LBB3_885:                              ;   in Loop: Header=BB3_831 Depth=1
	s_or_b32 exec_lo, exec_lo, s18
.LBB3_886:                              ;   in Loop: Header=BB3_831 Depth=1
	s_or_b32 exec_lo, exec_lo, s5
	s_clause 0x1
	global_load_dwordx2 v[9:10], v6, s[26:27] offset:40
	global_load_dwordx4 v[25:28], v6, s[26:27]
	v_readfirstlane_b32 s18, v4
	v_readfirstlane_b32 s19, v5
	s_mov_b32 s5, exec_lo
	s_waitcnt vmcnt(1)
	v_readfirstlane_b32 s20, v9
	v_readfirstlane_b32 s21, v10
	s_and_b64 s[20:21], s[18:19], s[20:21]
	s_mul_i32 s23, s21, 24
	s_mul_hi_u32 s24, s20, 24
	s_mul_i32 s25, s20, 24
	s_add_i32 s24, s24, s23
	s_waitcnt vmcnt(0)
	v_add_co_u32 v29, vcc_lo, v25, s25
	v_add_co_ci_u32_e32 v30, vcc_lo, s24, v26, vcc_lo
	s_and_saveexec_b32 s23, s4
	s_cbranch_execz .LBB3_888
; %bb.887:                              ;   in Loop: Header=BB3_831 Depth=1
	v_mov_b32_e32 v5, s5
	global_store_dwordx4 v[29:30], v[5:8], off offset:8
.LBB3_888:                              ;   in Loop: Header=BB3_831 Depth=1
	s_or_b32 exec_lo, exec_lo, s23
	s_lshl_b64 s[20:21], s[20:21], 12
	v_cmp_gt_u64_e64 vcc_lo, s[10:11], 56
	v_or_b32_e32 v5, v2, v31
	v_add_co_u32 v27, s5, v27, s20
	v_add_co_ci_u32_e64 v28, s5, s21, v28, s5
	s_lshl_b32 s5, s16, 2
	v_or_b32_e32 v4, 0, v3
	v_cndmask_b32_e32 v2, v5, v2, vcc_lo
	s_add_i32 s5, s5, 28
	v_readfirstlane_b32 s20, v27
	s_and_b32 s5, s5, 0x1e0
	v_cndmask_b32_e32 v10, v4, v3, vcc_lo
	v_readfirstlane_b32 s21, v28
	v_and_or_b32 v9, 0xffffff1f, v2, s5
	global_store_dwordx4 v38, v[9:12], s[20:21]
	global_store_dwordx4 v38, v[13:16], s[20:21] offset:16
	global_store_dwordx4 v38, v[17:20], s[20:21] offset:32
	;; [unrolled: 1-line block ×3, first 2 shown]
	s_and_saveexec_b32 s5, s4
	s_cbranch_execz .LBB3_896
; %bb.889:                              ;   in Loop: Header=BB3_831 Depth=1
	s_clause 0x1
	global_load_dwordx2 v[13:14], v6, s[26:27] offset:32 glc dlc
	global_load_dwordx2 v[2:3], v6, s[26:27] offset:40
	v_mov_b32_e32 v11, s18
	v_mov_b32_e32 v12, s19
	s_waitcnt vmcnt(0)
	v_readfirstlane_b32 s20, v2
	v_readfirstlane_b32 s21, v3
	s_and_b64 s[20:21], s[20:21], s[18:19]
	s_mul_i32 s21, s21, 24
	s_mul_hi_u32 s23, s20, 24
	s_mul_i32 s20, s20, 24
	s_add_i32 s23, s23, s21
	v_add_co_u32 v9, vcc_lo, v25, s20
	v_add_co_ci_u32_e32 v10, vcc_lo, s23, v26, vcc_lo
	s_mov_b32 s20, exec_lo
	global_store_dwordx2 v[9:10], v[13:14], off
	s_waitcnt_vscnt null, 0x0
	global_atomic_cmpswap_x2 v[4:5], v6, v[11:14], s[26:27] offset:32 glc
	s_waitcnt vmcnt(0)
	v_cmpx_ne_u64_e64 v[4:5], v[13:14]
	s_cbranch_execz .LBB3_892
; %bb.890:                              ;   in Loop: Header=BB3_831 Depth=1
	s_mov_b32 s21, 0
.LBB3_891:                              ;   Parent Loop BB3_831 Depth=1
                                        ; =>  This Inner Loop Header: Depth=2
	v_mov_b32_e32 v2, s18
	v_mov_b32_e32 v3, s19
	s_sleep 1
	global_store_dwordx2 v[9:10], v[4:5], off
	s_waitcnt_vscnt null, 0x0
	global_atomic_cmpswap_x2 v[2:3], v6, v[2:5], s[26:27] offset:32 glc
	s_waitcnt vmcnt(0)
	v_cmp_eq_u64_e32 vcc_lo, v[2:3], v[4:5]
	v_mov_b32_e32 v5, v3
	v_mov_b32_e32 v4, v2
	s_or_b32 s21, vcc_lo, s21
	s_andn2_b32 exec_lo, exec_lo, s21
	s_cbranch_execnz .LBB3_891
.LBB3_892:                              ;   in Loop: Header=BB3_831 Depth=1
	s_or_b32 exec_lo, exec_lo, s20
	global_load_dwordx2 v[2:3], v6, s[26:27] offset:16
	s_mov_b32 s21, exec_lo
	s_mov_b32 s20, exec_lo
	v_mbcnt_lo_u32_b32 v4, s21, 0
	v_cmpx_eq_u32_e32 0, v4
	s_cbranch_execz .LBB3_894
; %bb.893:                              ;   in Loop: Header=BB3_831 Depth=1
	s_bcnt1_i32_b32 s21, s21
	v_mov_b32_e32 v5, s21
	s_waitcnt vmcnt(0)
	global_atomic_add_x2 v[2:3], v[5:6], off offset:8
.LBB3_894:                              ;   in Loop: Header=BB3_831 Depth=1
	s_or_b32 exec_lo, exec_lo, s20
	s_waitcnt vmcnt(0)
	global_load_dwordx2 v[9:10], v[2:3], off offset:16
	s_waitcnt vmcnt(0)
	v_cmp_eq_u64_e32 vcc_lo, 0, v[9:10]
	s_cbranch_vccnz .LBB3_896
; %bb.895:                              ;   in Loop: Header=BB3_831 Depth=1
	global_load_dword v5, v[2:3], off offset:24
	s_waitcnt vmcnt(0)
	v_and_b32_e32 v2, 0x7fffff, v5
	s_waitcnt_vscnt null, 0x0
	global_store_dwordx2 v[9:10], v[5:6], off
	v_readfirstlane_b32 m0, v2
	s_sendmsg sendmsg(MSG_INTERRUPT)
.LBB3_896:                              ;   in Loop: Header=BB3_831 Depth=1
	s_or_b32 exec_lo, exec_lo, s5
	v_add_co_u32 v2, vcc_lo, v27, v38
	v_add_co_ci_u32_e32 v3, vcc_lo, 0, v28, vcc_lo
	s_branch .LBB3_900
	.p2align	6
.LBB3_897:                              ;   in Loop: Header=BB3_900 Depth=2
	s_or_b32 exec_lo, exec_lo, s5
	v_readfirstlane_b32 s5, v4
	s_cmp_eq_u32 s5, 0
	s_cbranch_scc1 .LBB3_899
; %bb.898:                              ;   in Loop: Header=BB3_900 Depth=2
	s_sleep 1
	s_cbranch_execnz .LBB3_900
	s_branch .LBB3_902
	.p2align	6
.LBB3_899:                              ;   in Loop: Header=BB3_831 Depth=1
	s_branch .LBB3_902
.LBB3_900:                              ;   Parent Loop BB3_831 Depth=1
                                        ; =>  This Inner Loop Header: Depth=2
	v_mov_b32_e32 v4, 1
	s_and_saveexec_b32 s5, s4
	s_cbranch_execz .LBB3_897
; %bb.901:                              ;   in Loop: Header=BB3_900 Depth=2
	global_load_dword v4, v[29:30], off offset:20 glc dlc
	s_waitcnt vmcnt(0)
	buffer_gl1_inv
	buffer_gl0_inv
	v_and_b32_e32 v4, 1, v4
	s_branch .LBB3_897
.LBB3_902:                              ;   in Loop: Header=BB3_831 Depth=1
	global_load_dwordx4 v[2:5], v[2:3], off
	s_and_saveexec_b32 s5, s4
	s_cbranch_execz .LBB3_830
; %bb.903:                              ;   in Loop: Header=BB3_831 Depth=1
	s_clause 0x2
	global_load_dwordx2 v[4:5], v6, s[26:27] offset:40
	global_load_dwordx2 v[13:14], v6, s[26:27] offset:24 glc dlc
	global_load_dwordx2 v[11:12], v6, s[26:27]
	s_waitcnt vmcnt(2)
	v_add_co_u32 v15, vcc_lo, v4, 1
	v_add_co_ci_u32_e32 v16, vcc_lo, 0, v5, vcc_lo
	v_add_co_u32 v9, vcc_lo, v15, s18
	v_add_co_ci_u32_e32 v10, vcc_lo, s19, v16, vcc_lo
	v_cmp_eq_u64_e32 vcc_lo, 0, v[9:10]
	v_cndmask_b32_e32 v10, v10, v16, vcc_lo
	v_cndmask_b32_e32 v9, v9, v15, vcc_lo
	v_and_b32_e32 v5, v10, v5
	v_and_b32_e32 v4, v9, v4
	v_mul_lo_u32 v5, v5, 24
	v_mul_hi_u32 v15, v4, 24
	v_mul_lo_u32 v4, v4, 24
	v_add_nc_u32_e32 v5, v15, v5
	s_waitcnt vmcnt(0)
	v_add_co_u32 v4, vcc_lo, v11, v4
	v_mov_b32_e32 v11, v13
	v_add_co_ci_u32_e32 v5, vcc_lo, v12, v5, vcc_lo
	v_mov_b32_e32 v12, v14
	global_store_dwordx2 v[4:5], v[13:14], off
	s_waitcnt_vscnt null, 0x0
	global_atomic_cmpswap_x2 v[11:12], v6, v[9:12], s[26:27] offset:24 glc
	s_waitcnt vmcnt(0)
	v_cmp_ne_u64_e32 vcc_lo, v[11:12], v[13:14]
	s_and_b32 exec_lo, exec_lo, vcc_lo
	s_cbranch_execz .LBB3_830
; %bb.904:                              ;   in Loop: Header=BB3_831 Depth=1
	s_mov_b32 s4, 0
.LBB3_905:                              ;   Parent Loop BB3_831 Depth=1
                                        ; =>  This Inner Loop Header: Depth=2
	s_sleep 1
	global_store_dwordx2 v[4:5], v[11:12], off
	s_waitcnt_vscnt null, 0x0
	global_atomic_cmpswap_x2 v[13:14], v6, v[9:12], s[26:27] offset:24 glc
	s_waitcnt vmcnt(0)
	v_cmp_eq_u64_e32 vcc_lo, v[13:14], v[11:12]
	v_mov_b32_e32 v11, v13
	v_mov_b32_e32 v12, v14
	s_or_b32 s4, vcc_lo, s4
	s_andn2_b32 exec_lo, exec_lo, s4
	s_cbranch_execnz .LBB3_905
	s_branch .LBB3_830
.LBB3_906:
	s_branch .LBB3_935
.LBB3_907:
                                        ; implicit-def: $vgpr2_vgpr3
	s_cbranch_execz .LBB3_935
; %bb.908:
	v_readfirstlane_b32 s4, v39
	v_mov_b32_e32 v8, 0
	v_mov_b32_e32 v9, 0
	v_cmp_eq_u32_e64 s4, s4, v39
	s_and_saveexec_b32 s5, s4
	s_cbranch_execz .LBB3_914
; %bb.909:
	s_waitcnt vmcnt(0)
	v_mov_b32_e32 v2, 0
	s_mov_b32 s6, exec_lo
	global_load_dwordx2 v[5:6], v2, s[26:27] offset:24 glc dlc
	s_waitcnt vmcnt(0)
	buffer_gl1_inv
	buffer_gl0_inv
	s_clause 0x1
	global_load_dwordx2 v[3:4], v2, s[26:27] offset:40
	global_load_dwordx2 v[7:8], v2, s[26:27]
	s_waitcnt vmcnt(1)
	v_and_b32_e32 v4, v4, v6
	v_and_b32_e32 v3, v3, v5
	v_mul_lo_u32 v4, v4, 24
	v_mul_hi_u32 v9, v3, 24
	v_mul_lo_u32 v3, v3, 24
	v_add_nc_u32_e32 v4, v9, v4
	s_waitcnt vmcnt(0)
	v_add_co_u32 v3, vcc_lo, v7, v3
	v_add_co_ci_u32_e32 v4, vcc_lo, v8, v4, vcc_lo
	global_load_dwordx2 v[3:4], v[3:4], off glc dlc
	s_waitcnt vmcnt(0)
	global_atomic_cmpswap_x2 v[8:9], v2, v[3:6], s[26:27] offset:24 glc
	s_waitcnt vmcnt(0)
	buffer_gl1_inv
	buffer_gl0_inv
	v_cmpx_ne_u64_e64 v[8:9], v[5:6]
	s_cbranch_execz .LBB3_913
; %bb.910:
	s_mov_b32 s7, 0
	.p2align	6
.LBB3_911:                              ; =>This Inner Loop Header: Depth=1
	s_sleep 1
	s_clause 0x1
	global_load_dwordx2 v[3:4], v2, s[26:27] offset:40
	global_load_dwordx2 v[10:11], v2, s[26:27]
	v_mov_b32_e32 v5, v8
	v_mov_b32_e32 v6, v9
	s_waitcnt vmcnt(1)
	v_and_b32_e32 v3, v3, v5
	v_and_b32_e32 v4, v4, v6
	s_waitcnt vmcnt(0)
	v_mad_u64_u32 v[7:8], null, v3, 24, v[10:11]
	v_mov_b32_e32 v3, v8
	v_mad_u64_u32 v[3:4], null, v4, 24, v[3:4]
	v_mov_b32_e32 v8, v3
	global_load_dwordx2 v[3:4], v[7:8], off glc dlc
	s_waitcnt vmcnt(0)
	global_atomic_cmpswap_x2 v[8:9], v2, v[3:6], s[26:27] offset:24 glc
	s_waitcnt vmcnt(0)
	buffer_gl1_inv
	buffer_gl0_inv
	v_cmp_eq_u64_e32 vcc_lo, v[8:9], v[5:6]
	s_or_b32 s7, vcc_lo, s7
	s_andn2_b32 exec_lo, exec_lo, s7
	s_cbranch_execnz .LBB3_911
; %bb.912:
	s_or_b32 exec_lo, exec_lo, s7
.LBB3_913:
	s_or_b32 exec_lo, exec_lo, s6
.LBB3_914:
	s_or_b32 exec_lo, exec_lo, s5
	s_waitcnt vmcnt(0)
	v_mov_b32_e32 v2, 0
	v_readfirstlane_b32 s6, v8
	v_readfirstlane_b32 s7, v9
	s_mov_b32 s5, exec_lo
	s_clause 0x1
	global_load_dwordx2 v[10:11], v2, s[26:27] offset:40
	global_load_dwordx4 v[4:7], v2, s[26:27]
	s_waitcnt vmcnt(1)
	v_readfirstlane_b32 s10, v10
	v_readfirstlane_b32 s11, v11
	s_and_b64 s[10:11], s[6:7], s[10:11]
	s_mul_i32 s16, s11, 24
	s_mul_hi_u32 s17, s10, 24
	s_mul_i32 s18, s10, 24
	s_add_i32 s17, s17, s16
	s_waitcnt vmcnt(0)
	v_add_co_u32 v8, vcc_lo, v4, s18
	v_add_co_ci_u32_e32 v9, vcc_lo, s17, v5, vcc_lo
	s_and_saveexec_b32 s16, s4
	s_cbranch_execz .LBB3_916
; %bb.915:
	v_mov_b32_e32 v10, s5
	v_mov_b32_e32 v11, v2
	;; [unrolled: 1-line block ×4, first 2 shown]
	global_store_dwordx4 v[8:9], v[10:13], off offset:8
.LBB3_916:
	s_or_b32 exec_lo, exec_lo, s16
	s_lshl_b64 s[10:11], s[10:11], 12
	s_mov_b32 s16, 0
	v_add_co_u32 v6, vcc_lo, v6, s10
	v_add_co_ci_u32_e32 v7, vcc_lo, s11, v7, vcc_lo
	s_mov_b32 s17, s16
	v_readfirstlane_b32 s10, v6
	v_add_co_u32 v6, vcc_lo, v6, v38
	s_mov_b32 s18, s16
	s_mov_b32 s19, s16
	v_and_or_b32 v0, 0xffffff1f, v0, 32
	v_mov_b32_e32 v3, v2
	v_readfirstlane_b32 s11, v7
	v_mov_b32_e32 v10, s16
	v_add_co_ci_u32_e32 v7, vcc_lo, 0, v7, vcc_lo
	v_mov_b32_e32 v11, s17
	v_mov_b32_e32 v12, s18
	;; [unrolled: 1-line block ×3, first 2 shown]
	global_store_dwordx4 v38, v[0:3], s[10:11]
	global_store_dwordx4 v38, v[10:13], s[10:11] offset:16
	global_store_dwordx4 v38, v[10:13], s[10:11] offset:32
	;; [unrolled: 1-line block ×3, first 2 shown]
	s_and_saveexec_b32 s5, s4
	s_cbranch_execz .LBB3_924
; %bb.917:
	v_mov_b32_e32 v10, 0
	v_mov_b32_e32 v11, s6
	;; [unrolled: 1-line block ×3, first 2 shown]
	s_clause 0x1
	global_load_dwordx2 v[13:14], v10, s[26:27] offset:32 glc dlc
	global_load_dwordx2 v[0:1], v10, s[26:27] offset:40
	s_waitcnt vmcnt(0)
	v_readfirstlane_b32 s10, v0
	v_readfirstlane_b32 s11, v1
	s_and_b64 s[10:11], s[10:11], s[6:7]
	s_mul_i32 s11, s11, 24
	s_mul_hi_u32 s16, s10, 24
	s_mul_i32 s10, s10, 24
	s_add_i32 s16, s16, s11
	v_add_co_u32 v4, vcc_lo, v4, s10
	v_add_co_ci_u32_e32 v5, vcc_lo, s16, v5, vcc_lo
	s_mov_b32 s10, exec_lo
	global_store_dwordx2 v[4:5], v[13:14], off
	s_waitcnt_vscnt null, 0x0
	global_atomic_cmpswap_x2 v[2:3], v10, v[11:14], s[26:27] offset:32 glc
	s_waitcnt vmcnt(0)
	v_cmpx_ne_u64_e64 v[2:3], v[13:14]
	s_cbranch_execz .LBB3_920
; %bb.918:
	s_mov_b32 s11, 0
.LBB3_919:                              ; =>This Inner Loop Header: Depth=1
	v_mov_b32_e32 v0, s6
	v_mov_b32_e32 v1, s7
	s_sleep 1
	global_store_dwordx2 v[4:5], v[2:3], off
	s_waitcnt_vscnt null, 0x0
	global_atomic_cmpswap_x2 v[0:1], v10, v[0:3], s[26:27] offset:32 glc
	s_waitcnt vmcnt(0)
	v_cmp_eq_u64_e32 vcc_lo, v[0:1], v[2:3]
	v_mov_b32_e32 v3, v1
	v_mov_b32_e32 v2, v0
	s_or_b32 s11, vcc_lo, s11
	s_andn2_b32 exec_lo, exec_lo, s11
	s_cbranch_execnz .LBB3_919
.LBB3_920:
	s_or_b32 exec_lo, exec_lo, s10
	v_mov_b32_e32 v3, 0
	s_mov_b32 s11, exec_lo
	s_mov_b32 s10, exec_lo
	v_mbcnt_lo_u32_b32 v2, s11, 0
	global_load_dwordx2 v[0:1], v3, s[26:27] offset:16
	v_cmpx_eq_u32_e32 0, v2
	s_cbranch_execz .LBB3_922
; %bb.921:
	s_bcnt1_i32_b32 s11, s11
	v_mov_b32_e32 v2, s11
	s_waitcnt vmcnt(0)
	global_atomic_add_x2 v[0:1], v[2:3], off offset:8
.LBB3_922:
	s_or_b32 exec_lo, exec_lo, s10
	s_waitcnt vmcnt(0)
	global_load_dwordx2 v[2:3], v[0:1], off offset:16
	s_waitcnt vmcnt(0)
	v_cmp_eq_u64_e32 vcc_lo, 0, v[2:3]
	s_cbranch_vccnz .LBB3_924
; %bb.923:
	global_load_dword v0, v[0:1], off offset:24
	v_mov_b32_e32 v1, 0
	s_waitcnt vmcnt(0)
	v_and_b32_e32 v4, 0x7fffff, v0
	s_waitcnt_vscnt null, 0x0
	global_store_dwordx2 v[2:3], v[0:1], off
	v_readfirstlane_b32 m0, v4
	s_sendmsg sendmsg(MSG_INTERRUPT)
.LBB3_924:
	s_or_b32 exec_lo, exec_lo, s5
	s_branch .LBB3_928
	.p2align	6
.LBB3_925:                              ;   in Loop: Header=BB3_928 Depth=1
	s_or_b32 exec_lo, exec_lo, s5
	v_readfirstlane_b32 s5, v0
	s_cmp_eq_u32 s5, 0
	s_cbranch_scc1 .LBB3_927
; %bb.926:                              ;   in Loop: Header=BB3_928 Depth=1
	s_sleep 1
	s_cbranch_execnz .LBB3_928
	s_branch .LBB3_930
	.p2align	6
.LBB3_927:
	s_branch .LBB3_930
.LBB3_928:                              ; =>This Inner Loop Header: Depth=1
	v_mov_b32_e32 v0, 1
	s_and_saveexec_b32 s5, s4
	s_cbranch_execz .LBB3_925
; %bb.929:                              ;   in Loop: Header=BB3_928 Depth=1
	global_load_dword v0, v[8:9], off offset:20 glc dlc
	s_waitcnt vmcnt(0)
	buffer_gl1_inv
	buffer_gl0_inv
	v_and_b32_e32 v0, 1, v0
	s_branch .LBB3_925
.LBB3_930:
	global_load_dwordx2 v[2:3], v[6:7], off
	s_and_saveexec_b32 s5, s4
	s_cbranch_execz .LBB3_934
; %bb.931:
	v_mov_b32_e32 v8, 0
	s_clause 0x2
	global_load_dwordx2 v[0:1], v8, s[26:27] offset:40
	global_load_dwordx2 v[9:10], v8, s[26:27] offset:24 glc dlc
	global_load_dwordx2 v[6:7], v8, s[26:27]
	s_waitcnt vmcnt(2)
	v_add_co_u32 v11, vcc_lo, v0, 1
	v_add_co_ci_u32_e32 v12, vcc_lo, 0, v1, vcc_lo
	v_add_co_u32 v4, vcc_lo, v11, s6
	v_add_co_ci_u32_e32 v5, vcc_lo, s7, v12, vcc_lo
	v_cmp_eq_u64_e32 vcc_lo, 0, v[4:5]
	v_cndmask_b32_e32 v5, v5, v12, vcc_lo
	v_cndmask_b32_e32 v4, v4, v11, vcc_lo
	v_and_b32_e32 v1, v5, v1
	v_and_b32_e32 v0, v4, v0
	v_mul_lo_u32 v1, v1, 24
	v_mul_hi_u32 v11, v0, 24
	v_mul_lo_u32 v0, v0, 24
	v_add_nc_u32_e32 v1, v11, v1
	s_waitcnt vmcnt(0)
	v_add_co_u32 v0, vcc_lo, v6, v0
	v_mov_b32_e32 v6, v9
	v_add_co_ci_u32_e32 v1, vcc_lo, v7, v1, vcc_lo
	v_mov_b32_e32 v7, v10
	global_store_dwordx2 v[0:1], v[9:10], off
	s_waitcnt_vscnt null, 0x0
	global_atomic_cmpswap_x2 v[6:7], v8, v[4:7], s[26:27] offset:24 glc
	s_waitcnt vmcnt(0)
	v_cmp_ne_u64_e32 vcc_lo, v[6:7], v[9:10]
	s_and_b32 exec_lo, exec_lo, vcc_lo
	s_cbranch_execz .LBB3_934
; %bb.932:
	s_mov_b32 s4, 0
.LBB3_933:                              ; =>This Inner Loop Header: Depth=1
	s_sleep 1
	global_store_dwordx2 v[0:1], v[6:7], off
	s_waitcnt_vscnt null, 0x0
	global_atomic_cmpswap_x2 v[9:10], v8, v[4:7], s[26:27] offset:24 glc
	s_waitcnt vmcnt(0)
	v_cmp_eq_u64_e32 vcc_lo, v[9:10], v[6:7]
	v_mov_b32_e32 v6, v9
	v_mov_b32_e32 v7, v10
	s_or_b32 s4, vcc_lo, s4
	s_andn2_b32 exec_lo, exec_lo, s4
	s_cbranch_execnz .LBB3_933
.LBB3_934:
	s_or_b32 exec_lo, exec_lo, s5
.LBB3_935:
	v_readfirstlane_b32 s4, v39
	s_waitcnt vmcnt(0)
	v_mov_b32_e32 v0, 0
	v_mov_b32_e32 v1, 0
	v_cmp_eq_u32_e64 s4, s4, v39
	s_and_saveexec_b32 s5, s4
	s_cbranch_execz .LBB3_941
; %bb.936:
	v_mov_b32_e32 v4, 0
	s_mov_b32 s6, exec_lo
	global_load_dwordx2 v[7:8], v4, s[26:27] offset:24 glc dlc
	s_waitcnt vmcnt(0)
	buffer_gl1_inv
	buffer_gl0_inv
	s_clause 0x1
	global_load_dwordx2 v[0:1], v4, s[26:27] offset:40
	global_load_dwordx2 v[5:6], v4, s[26:27]
	s_waitcnt vmcnt(1)
	v_and_b32_e32 v1, v1, v8
	v_and_b32_e32 v0, v0, v7
	v_mul_lo_u32 v1, v1, 24
	v_mul_hi_u32 v9, v0, 24
	v_mul_lo_u32 v0, v0, 24
	v_add_nc_u32_e32 v1, v9, v1
	s_waitcnt vmcnt(0)
	v_add_co_u32 v0, vcc_lo, v5, v0
	v_add_co_ci_u32_e32 v1, vcc_lo, v6, v1, vcc_lo
	global_load_dwordx2 v[5:6], v[0:1], off glc dlc
	s_waitcnt vmcnt(0)
	global_atomic_cmpswap_x2 v[0:1], v4, v[5:8], s[26:27] offset:24 glc
	s_waitcnt vmcnt(0)
	buffer_gl1_inv
	buffer_gl0_inv
	v_cmpx_ne_u64_e64 v[0:1], v[7:8]
	s_cbranch_execz .LBB3_940
; %bb.937:
	s_mov_b32 s7, 0
	.p2align	6
.LBB3_938:                              ; =>This Inner Loop Header: Depth=1
	s_sleep 1
	s_clause 0x1
	global_load_dwordx2 v[5:6], v4, s[26:27] offset:40
	global_load_dwordx2 v[9:10], v4, s[26:27]
	v_mov_b32_e32 v8, v1
	v_mov_b32_e32 v7, v0
	s_waitcnt vmcnt(1)
	v_and_b32_e32 v0, v5, v7
	v_and_b32_e32 v5, v6, v8
	s_waitcnt vmcnt(0)
	v_mad_u64_u32 v[0:1], null, v0, 24, v[9:10]
	v_mad_u64_u32 v[5:6], null, v5, 24, v[1:2]
	v_mov_b32_e32 v1, v5
	global_load_dwordx2 v[5:6], v[0:1], off glc dlc
	s_waitcnt vmcnt(0)
	global_atomic_cmpswap_x2 v[0:1], v4, v[5:8], s[26:27] offset:24 glc
	s_waitcnt vmcnt(0)
	buffer_gl1_inv
	buffer_gl0_inv
	v_cmp_eq_u64_e32 vcc_lo, v[0:1], v[7:8]
	s_or_b32 s7, vcc_lo, s7
	s_andn2_b32 exec_lo, exec_lo, s7
	s_cbranch_execnz .LBB3_938
; %bb.939:
	s_or_b32 exec_lo, exec_lo, s7
.LBB3_940:
	s_or_b32 exec_lo, exec_lo, s6
.LBB3_941:
	s_or_b32 exec_lo, exec_lo, s5
	v_mov_b32_e32 v5, 0
	v_readfirstlane_b32 s6, v0
	v_readfirstlane_b32 s7, v1
	s_mov_b32 s5, exec_lo
	s_clause 0x1
	global_load_dwordx2 v[10:11], v5, s[26:27] offset:40
	global_load_dwordx4 v[6:9], v5, s[26:27]
	s_waitcnt vmcnt(1)
	v_readfirstlane_b32 s10, v10
	v_readfirstlane_b32 s11, v11
	s_and_b64 s[10:11], s[6:7], s[10:11]
	s_mul_i32 s16, s11, 24
	s_mul_hi_u32 s17, s10, 24
	s_mul_i32 s18, s10, 24
	s_add_i32 s17, s17, s16
	s_waitcnt vmcnt(0)
	v_add_co_u32 v10, vcc_lo, v6, s18
	v_add_co_ci_u32_e32 v11, vcc_lo, s17, v7, vcc_lo
	s_and_saveexec_b32 s16, s4
	s_cbranch_execz .LBB3_943
; %bb.942:
	v_mov_b32_e32 v4, s5
	v_mov_b32_e32 v13, v5
	;; [unrolled: 1-line block ×5, first 2 shown]
	global_store_dwordx4 v[10:11], v[12:15], off offset:8
.LBB3_943:
	s_or_b32 exec_lo, exec_lo, s16
	s_lshl_b64 s[10:11], s[10:11], 12
	s_mov_b32 s16, 0
	v_add_co_u32 v0, vcc_lo, v8, s10
	v_add_co_ci_u32_e32 v1, vcc_lo, s11, v9, vcc_lo
	s_mov_b32 s17, s16
	s_mov_b32 s18, s16
	;; [unrolled: 1-line block ×3, first 2 shown]
	v_and_or_b32 v2, 0xffffff1d, v2, 34
	v_mov_b32_e32 v4, 0x269
	v_readfirstlane_b32 s10, v0
	v_readfirstlane_b32 s11, v1
	v_mov_b32_e32 v12, s16
	v_mov_b32_e32 v13, s17
	;; [unrolled: 1-line block ×4, first 2 shown]
	global_store_dwordx4 v38, v[2:5], s[10:11]
	global_store_dwordx4 v38, v[12:15], s[10:11] offset:16
	global_store_dwordx4 v38, v[12:15], s[10:11] offset:32
	;; [unrolled: 1-line block ×3, first 2 shown]
	s_and_saveexec_b32 s5, s4
	s_cbranch_execz .LBB3_951
; %bb.944:
	v_mov_b32_e32 v8, 0
	v_mov_b32_e32 v12, s6
	;; [unrolled: 1-line block ×3, first 2 shown]
	s_clause 0x1
	global_load_dwordx2 v[14:15], v8, s[26:27] offset:32 glc dlc
	global_load_dwordx2 v[0:1], v8, s[26:27] offset:40
	s_waitcnt vmcnt(0)
	v_readfirstlane_b32 s10, v0
	v_readfirstlane_b32 s11, v1
	s_and_b64 s[10:11], s[10:11], s[6:7]
	s_mul_i32 s11, s11, 24
	s_mul_hi_u32 s16, s10, 24
	s_mul_i32 s10, s10, 24
	s_add_i32 s16, s16, s11
	v_add_co_u32 v4, vcc_lo, v6, s10
	v_add_co_ci_u32_e32 v5, vcc_lo, s16, v7, vcc_lo
	s_mov_b32 s10, exec_lo
	global_store_dwordx2 v[4:5], v[14:15], off
	s_waitcnt_vscnt null, 0x0
	global_atomic_cmpswap_x2 v[2:3], v8, v[12:15], s[26:27] offset:32 glc
	s_waitcnt vmcnt(0)
	v_cmpx_ne_u64_e64 v[2:3], v[14:15]
	s_cbranch_execz .LBB3_947
; %bb.945:
	s_mov_b32 s11, 0
.LBB3_946:                              ; =>This Inner Loop Header: Depth=1
	v_mov_b32_e32 v0, s6
	v_mov_b32_e32 v1, s7
	s_sleep 1
	global_store_dwordx2 v[4:5], v[2:3], off
	s_waitcnt_vscnt null, 0x0
	global_atomic_cmpswap_x2 v[0:1], v8, v[0:3], s[26:27] offset:32 glc
	s_waitcnt vmcnt(0)
	v_cmp_eq_u64_e32 vcc_lo, v[0:1], v[2:3]
	v_mov_b32_e32 v3, v1
	v_mov_b32_e32 v2, v0
	s_or_b32 s11, vcc_lo, s11
	s_andn2_b32 exec_lo, exec_lo, s11
	s_cbranch_execnz .LBB3_946
.LBB3_947:
	s_or_b32 exec_lo, exec_lo, s10
	v_mov_b32_e32 v3, 0
	s_mov_b32 s11, exec_lo
	s_mov_b32 s10, exec_lo
	v_mbcnt_lo_u32_b32 v2, s11, 0
	global_load_dwordx2 v[0:1], v3, s[26:27] offset:16
	v_cmpx_eq_u32_e32 0, v2
	s_cbranch_execz .LBB3_949
; %bb.948:
	s_bcnt1_i32_b32 s11, s11
	v_mov_b32_e32 v2, s11
	s_waitcnt vmcnt(0)
	global_atomic_add_x2 v[0:1], v[2:3], off offset:8
.LBB3_949:
	s_or_b32 exec_lo, exec_lo, s10
	s_waitcnt vmcnt(0)
	global_load_dwordx2 v[2:3], v[0:1], off offset:16
	s_waitcnt vmcnt(0)
	v_cmp_eq_u64_e32 vcc_lo, 0, v[2:3]
	s_cbranch_vccnz .LBB3_951
; %bb.950:
	global_load_dword v0, v[0:1], off offset:24
	v_mov_b32_e32 v1, 0
	s_waitcnt vmcnt(0)
	v_and_b32_e32 v4, 0x7fffff, v0
	s_waitcnt_vscnt null, 0x0
	global_store_dwordx2 v[2:3], v[0:1], off
	v_readfirstlane_b32 m0, v4
	s_sendmsg sendmsg(MSG_INTERRUPT)
.LBB3_951:
	s_or_b32 exec_lo, exec_lo, s5
	s_branch .LBB3_955
	.p2align	6
.LBB3_952:                              ;   in Loop: Header=BB3_955 Depth=1
	s_or_b32 exec_lo, exec_lo, s5
	v_readfirstlane_b32 s5, v0
	s_cmp_eq_u32 s5, 0
	s_cbranch_scc1 .LBB3_954
; %bb.953:                              ;   in Loop: Header=BB3_955 Depth=1
	s_sleep 1
	s_cbranch_execnz .LBB3_955
	s_branch .LBB3_957
	.p2align	6
.LBB3_954:
	s_branch .LBB3_957
.LBB3_955:                              ; =>This Inner Loop Header: Depth=1
	v_mov_b32_e32 v0, 1
	s_and_saveexec_b32 s5, s4
	s_cbranch_execz .LBB3_952
; %bb.956:                              ;   in Loop: Header=BB3_955 Depth=1
	global_load_dword v0, v[10:11], off offset:20 glc dlc
	s_waitcnt vmcnt(0)
	buffer_gl1_inv
	buffer_gl0_inv
	v_and_b32_e32 v0, 1, v0
	s_branch .LBB3_952
.LBB3_957:
	s_and_saveexec_b32 s5, s4
	s_cbranch_execz .LBB3_961
; %bb.958:
	v_mov_b32_e32 v6, 0
	s_clause 0x2
	global_load_dwordx2 v[2:3], v6, s[26:27] offset:40
	global_load_dwordx2 v[7:8], v6, s[26:27] offset:24 glc dlc
	global_load_dwordx2 v[4:5], v6, s[26:27]
	s_waitcnt vmcnt(2)
	v_add_co_u32 v9, vcc_lo, v2, 1
	v_add_co_ci_u32_e32 v10, vcc_lo, 0, v3, vcc_lo
	v_add_co_u32 v0, vcc_lo, v9, s6
	v_add_co_ci_u32_e32 v1, vcc_lo, s7, v10, vcc_lo
	v_cmp_eq_u64_e32 vcc_lo, 0, v[0:1]
	v_cndmask_b32_e32 v1, v1, v10, vcc_lo
	v_cndmask_b32_e32 v0, v0, v9, vcc_lo
	v_and_b32_e32 v3, v1, v3
	v_and_b32_e32 v2, v0, v2
	v_mul_lo_u32 v3, v3, 24
	v_mul_hi_u32 v9, v2, 24
	v_mul_lo_u32 v2, v2, 24
	v_add_nc_u32_e32 v3, v9, v3
	s_waitcnt vmcnt(0)
	v_add_co_u32 v4, vcc_lo, v4, v2
	v_mov_b32_e32 v2, v7
	v_add_co_ci_u32_e32 v5, vcc_lo, v5, v3, vcc_lo
	v_mov_b32_e32 v3, v8
	global_store_dwordx2 v[4:5], v[7:8], off
	s_waitcnt_vscnt null, 0x0
	global_atomic_cmpswap_x2 v[2:3], v6, v[0:3], s[26:27] offset:24 glc
	s_waitcnt vmcnt(0)
	v_cmp_ne_u64_e32 vcc_lo, v[2:3], v[7:8]
	s_and_b32 exec_lo, exec_lo, vcc_lo
	s_cbranch_execz .LBB3_961
; %bb.959:
	s_mov_b32 s4, 0
.LBB3_960:                              ; =>This Inner Loop Header: Depth=1
	s_sleep 1
	global_store_dwordx2 v[4:5], v[2:3], off
	s_waitcnt_vscnt null, 0x0
	global_atomic_cmpswap_x2 v[7:8], v6, v[0:3], s[26:27] offset:24 glc
	s_waitcnt vmcnt(0)
	v_cmp_eq_u64_e32 vcc_lo, v[7:8], v[2:3]
	v_mov_b32_e32 v2, v7
	v_mov_b32_e32 v3, v8
	s_or_b32 s4, vcc_lo, s4
	s_andn2_b32 exec_lo, exec_lo, s4
	s_cbranch_execnz .LBB3_960
.LBB3_961:
	s_or_b32 exec_lo, exec_lo, s5
	v_readfirstlane_b32 s4, v39
	v_mov_b32_e32 v6, 0
	v_mov_b32_e32 v7, 0
	v_cmp_eq_u32_e64 s4, s4, v39
	s_and_saveexec_b32 s5, s4
	s_cbranch_execz .LBB3_967
; %bb.962:
	v_mov_b32_e32 v0, 0
	s_mov_b32 s6, exec_lo
	global_load_dwordx2 v[3:4], v0, s[26:27] offset:24 glc dlc
	s_waitcnt vmcnt(0)
	buffer_gl1_inv
	buffer_gl0_inv
	s_clause 0x1
	global_load_dwordx2 v[1:2], v0, s[26:27] offset:40
	global_load_dwordx2 v[5:6], v0, s[26:27]
	s_waitcnt vmcnt(1)
	v_and_b32_e32 v2, v2, v4
	v_and_b32_e32 v1, v1, v3
	v_mul_lo_u32 v2, v2, 24
	v_mul_hi_u32 v7, v1, 24
	v_mul_lo_u32 v1, v1, 24
	v_add_nc_u32_e32 v2, v7, v2
	s_waitcnt vmcnt(0)
	v_add_co_u32 v1, vcc_lo, v5, v1
	v_add_co_ci_u32_e32 v2, vcc_lo, v6, v2, vcc_lo
	global_load_dwordx2 v[1:2], v[1:2], off glc dlc
	s_waitcnt vmcnt(0)
	global_atomic_cmpswap_x2 v[6:7], v0, v[1:4], s[26:27] offset:24 glc
	s_waitcnt vmcnt(0)
	buffer_gl1_inv
	buffer_gl0_inv
	v_cmpx_ne_u64_e64 v[6:7], v[3:4]
	s_cbranch_execz .LBB3_966
; %bb.963:
	s_mov_b32 s7, 0
	.p2align	6
.LBB3_964:                              ; =>This Inner Loop Header: Depth=1
	s_sleep 1
	s_clause 0x1
	global_load_dwordx2 v[1:2], v0, s[26:27] offset:40
	global_load_dwordx2 v[8:9], v0, s[26:27]
	v_mov_b32_e32 v3, v6
	v_mov_b32_e32 v4, v7
	s_waitcnt vmcnt(1)
	v_and_b32_e32 v1, v1, v3
	v_and_b32_e32 v2, v2, v4
	s_waitcnt vmcnt(0)
	v_mad_u64_u32 v[5:6], null, v1, 24, v[8:9]
	v_mov_b32_e32 v1, v6
	v_mad_u64_u32 v[1:2], null, v2, 24, v[1:2]
	v_mov_b32_e32 v6, v1
	global_load_dwordx2 v[1:2], v[5:6], off glc dlc
	s_waitcnt vmcnt(0)
	global_atomic_cmpswap_x2 v[6:7], v0, v[1:4], s[26:27] offset:24 glc
	s_waitcnt vmcnt(0)
	buffer_gl1_inv
	buffer_gl0_inv
	v_cmp_eq_u64_e32 vcc_lo, v[6:7], v[3:4]
	s_or_b32 s7, vcc_lo, s7
	s_andn2_b32 exec_lo, exec_lo, s7
	s_cbranch_execnz .LBB3_964
; %bb.965:
	s_or_b32 exec_lo, exec_lo, s7
.LBB3_966:
	s_or_b32 exec_lo, exec_lo, s6
.LBB3_967:
	s_or_b32 exec_lo, exec_lo, s5
	v_mov_b32_e32 v5, 0
	v_readfirstlane_b32 s6, v6
	v_readfirstlane_b32 s7, v7
	s_mov_b32 s5, exec_lo
	s_clause 0x1
	global_load_dwordx2 v[8:9], v5, s[26:27] offset:40
	global_load_dwordx4 v[0:3], v5, s[26:27]
	s_waitcnt vmcnt(1)
	v_readfirstlane_b32 s10, v8
	v_readfirstlane_b32 s11, v9
	s_and_b64 s[10:11], s[6:7], s[10:11]
	s_mul_i32 s16, s11, 24
	s_mul_hi_u32 s17, s10, 24
	s_mul_i32 s18, s10, 24
	s_add_i32 s17, s17, s16
	s_waitcnt vmcnt(0)
	v_add_co_u32 v8, vcc_lo, v0, s18
	v_add_co_ci_u32_e32 v9, vcc_lo, s17, v1, vcc_lo
	s_and_saveexec_b32 s16, s4
	s_cbranch_execz .LBB3_969
; %bb.968:
	v_mov_b32_e32 v4, s5
	v_mov_b32_e32 v6, 2
	;; [unrolled: 1-line block ×3, first 2 shown]
	global_store_dwordx4 v[8:9], v[4:7], off offset:8
.LBB3_969:
	s_or_b32 exec_lo, exec_lo, s16
	s_lshl_b64 s[10:11], s[10:11], 12
	s_mov_b32 s16, 0
	v_add_co_u32 v2, vcc_lo, v2, s10
	v_add_co_ci_u32_e32 v3, vcc_lo, s11, v3, vcc_lo
	s_mov_b32 s17, s16
	v_add_co_u32 v10, vcc_lo, v2, v38
	s_mov_b32 s18, s16
	s_mov_b32 s19, s16
	v_mov_b32_e32 v4, 33
	v_mov_b32_e32 v6, v5
	;; [unrolled: 1-line block ×3, first 2 shown]
	v_readfirstlane_b32 s10, v2
	v_readfirstlane_b32 s11, v3
	v_mov_b32_e32 v12, s16
	v_add_co_ci_u32_e32 v11, vcc_lo, 0, v3, vcc_lo
	v_mov_b32_e32 v13, s17
	v_mov_b32_e32 v14, s18
	;; [unrolled: 1-line block ×3, first 2 shown]
	global_store_dwordx4 v38, v[4:7], s[10:11]
	global_store_dwordx4 v38, v[12:15], s[10:11] offset:16
	global_store_dwordx4 v38, v[12:15], s[10:11] offset:32
	;; [unrolled: 1-line block ×3, first 2 shown]
	s_and_saveexec_b32 s5, s4
	s_cbranch_execz .LBB3_977
; %bb.970:
	v_mov_b32_e32 v6, 0
	v_mov_b32_e32 v12, s6
	;; [unrolled: 1-line block ×3, first 2 shown]
	s_clause 0x1
	global_load_dwordx2 v[14:15], v6, s[26:27] offset:32 glc dlc
	global_load_dwordx2 v[2:3], v6, s[26:27] offset:40
	s_waitcnt vmcnt(0)
	v_readfirstlane_b32 s10, v2
	v_readfirstlane_b32 s11, v3
	s_and_b64 s[10:11], s[10:11], s[6:7]
	s_mul_i32 s11, s11, 24
	s_mul_hi_u32 s16, s10, 24
	s_mul_i32 s10, s10, 24
	s_add_i32 s16, s16, s11
	v_add_co_u32 v4, vcc_lo, v0, s10
	v_add_co_ci_u32_e32 v5, vcc_lo, s16, v1, vcc_lo
	s_mov_b32 s10, exec_lo
	global_store_dwordx2 v[4:5], v[14:15], off
	s_waitcnt_vscnt null, 0x0
	global_atomic_cmpswap_x2 v[2:3], v6, v[12:15], s[26:27] offset:32 glc
	s_waitcnt vmcnt(0)
	v_cmpx_ne_u64_e64 v[2:3], v[14:15]
	s_cbranch_execz .LBB3_973
; %bb.971:
	s_mov_b32 s11, 0
.LBB3_972:                              ; =>This Inner Loop Header: Depth=1
	v_mov_b32_e32 v0, s6
	v_mov_b32_e32 v1, s7
	s_sleep 1
	global_store_dwordx2 v[4:5], v[2:3], off
	s_waitcnt_vscnt null, 0x0
	global_atomic_cmpswap_x2 v[0:1], v6, v[0:3], s[26:27] offset:32 glc
	s_waitcnt vmcnt(0)
	v_cmp_eq_u64_e32 vcc_lo, v[0:1], v[2:3]
	v_mov_b32_e32 v3, v1
	v_mov_b32_e32 v2, v0
	s_or_b32 s11, vcc_lo, s11
	s_andn2_b32 exec_lo, exec_lo, s11
	s_cbranch_execnz .LBB3_972
.LBB3_973:
	s_or_b32 exec_lo, exec_lo, s10
	v_mov_b32_e32 v3, 0
	s_mov_b32 s11, exec_lo
	s_mov_b32 s10, exec_lo
	v_mbcnt_lo_u32_b32 v2, s11, 0
	global_load_dwordx2 v[0:1], v3, s[26:27] offset:16
	v_cmpx_eq_u32_e32 0, v2
	s_cbranch_execz .LBB3_975
; %bb.974:
	s_bcnt1_i32_b32 s11, s11
	v_mov_b32_e32 v2, s11
	s_waitcnt vmcnt(0)
	global_atomic_add_x2 v[0:1], v[2:3], off offset:8
.LBB3_975:
	s_or_b32 exec_lo, exec_lo, s10
	s_waitcnt vmcnt(0)
	global_load_dwordx2 v[2:3], v[0:1], off offset:16
	s_waitcnt vmcnt(0)
	v_cmp_eq_u64_e32 vcc_lo, 0, v[2:3]
	s_cbranch_vccnz .LBB3_977
; %bb.976:
	global_load_dword v0, v[0:1], off offset:24
	v_mov_b32_e32 v1, 0
	s_waitcnt vmcnt(0)
	v_and_b32_e32 v4, 0x7fffff, v0
	s_waitcnt_vscnt null, 0x0
	global_store_dwordx2 v[2:3], v[0:1], off
	v_readfirstlane_b32 m0, v4
	s_sendmsg sendmsg(MSG_INTERRUPT)
.LBB3_977:
	s_or_b32 exec_lo, exec_lo, s5
	s_branch .LBB3_981
	.p2align	6
.LBB3_978:                              ;   in Loop: Header=BB3_981 Depth=1
	s_or_b32 exec_lo, exec_lo, s5
	v_readfirstlane_b32 s5, v0
	s_cmp_eq_u32 s5, 0
	s_cbranch_scc1 .LBB3_980
; %bb.979:                              ;   in Loop: Header=BB3_981 Depth=1
	s_sleep 1
	s_cbranch_execnz .LBB3_981
	s_branch .LBB3_983
	.p2align	6
.LBB3_980:
	s_branch .LBB3_983
.LBB3_981:                              ; =>This Inner Loop Header: Depth=1
	v_mov_b32_e32 v0, 1
	s_and_saveexec_b32 s5, s4
	s_cbranch_execz .LBB3_978
; %bb.982:                              ;   in Loop: Header=BB3_981 Depth=1
	global_load_dword v0, v[8:9], off offset:20 glc dlc
	s_waitcnt vmcnt(0)
	buffer_gl1_inv
	buffer_gl0_inv
	v_and_b32_e32 v0, 1, v0
	s_branch .LBB3_978
.LBB3_983:
	global_load_dwordx2 v[0:1], v[10:11], off
	s_and_saveexec_b32 s5, s4
	s_cbranch_execz .LBB3_987
; %bb.984:
	v_mov_b32_e32 v8, 0
	s_clause 0x2
	global_load_dwordx2 v[4:5], v8, s[26:27] offset:40
	global_load_dwordx2 v[9:10], v8, s[26:27] offset:24 glc dlc
	global_load_dwordx2 v[6:7], v8, s[26:27]
	s_waitcnt vmcnt(2)
	v_add_co_u32 v11, vcc_lo, v4, 1
	v_add_co_ci_u32_e32 v12, vcc_lo, 0, v5, vcc_lo
	v_add_co_u32 v2, vcc_lo, v11, s6
	v_add_co_ci_u32_e32 v3, vcc_lo, s7, v12, vcc_lo
	v_cmp_eq_u64_e32 vcc_lo, 0, v[2:3]
	v_cndmask_b32_e32 v3, v3, v12, vcc_lo
	v_cndmask_b32_e32 v2, v2, v11, vcc_lo
	v_and_b32_e32 v5, v3, v5
	v_and_b32_e32 v4, v2, v4
	v_mul_lo_u32 v5, v5, 24
	v_mul_hi_u32 v11, v4, 24
	v_mul_lo_u32 v4, v4, 24
	v_add_nc_u32_e32 v5, v11, v5
	s_waitcnt vmcnt(0)
	v_add_co_u32 v6, vcc_lo, v6, v4
	v_mov_b32_e32 v4, v9
	v_add_co_ci_u32_e32 v7, vcc_lo, v7, v5, vcc_lo
	v_mov_b32_e32 v5, v10
	global_store_dwordx2 v[6:7], v[9:10], off
	s_waitcnt_vscnt null, 0x0
	global_atomic_cmpswap_x2 v[4:5], v8, v[2:5], s[26:27] offset:24 glc
	s_waitcnt vmcnt(0)
	v_cmp_ne_u64_e32 vcc_lo, v[4:5], v[9:10]
	s_and_b32 exec_lo, exec_lo, vcc_lo
	s_cbranch_execz .LBB3_987
; %bb.985:
	s_mov_b32 s4, 0
.LBB3_986:                              ; =>This Inner Loop Header: Depth=1
	s_sleep 1
	global_store_dwordx2 v[6:7], v[4:5], off
	s_waitcnt_vscnt null, 0x0
	global_atomic_cmpswap_x2 v[9:10], v8, v[2:5], s[26:27] offset:24 glc
	s_waitcnt vmcnt(0)
	v_cmp_eq_u64_e32 vcc_lo, v[9:10], v[4:5]
	v_mov_b32_e32 v4, v9
	v_mov_b32_e32 v5, v10
	s_or_b32 s4, vcc_lo, s4
	s_andn2_b32 exec_lo, exec_lo, s4
	s_cbranch_execnz .LBB3_986
.LBB3_987:
	s_or_b32 exec_lo, exec_lo, s5
	s_and_b32 vcc_lo, exec_lo, s34
	s_cbranch_vccz .LBB3_1066
; %bb.988:
	s_waitcnt vmcnt(0)
	v_and_b32_e32 v31, 2, v0
	v_mov_b32_e32 v6, 0
	v_and_b32_e32 v2, -3, v0
	v_mov_b32_e32 v3, v1
	v_mov_b32_e32 v7, 2
	;; [unrolled: 1-line block ×3, first 2 shown]
	s_mov_b64 s[10:11], 3
	s_getpc_b64 s[6:7]
	s_add_u32 s6, s6, .str.6@rel32@lo+4
	s_addc_u32 s7, s7, .str.6@rel32@hi+12
	s_branch .LBB3_990
.LBB3_989:                              ;   in Loop: Header=BB3_990 Depth=1
	s_or_b32 exec_lo, exec_lo, s5
	s_sub_u32 s10, s10, s16
	s_subb_u32 s11, s11, s17
	s_add_u32 s6, s6, s16
	s_addc_u32 s7, s7, s17
	s_cmp_lg_u64 s[10:11], 0
	s_cbranch_scc0 .LBB3_1065
.LBB3_990:                              ; =>This Loop Header: Depth=1
                                        ;     Child Loop BB3_999 Depth 2
                                        ;     Child Loop BB3_995 Depth 2
	;; [unrolled: 1-line block ×11, first 2 shown]
	v_cmp_lt_u64_e64 s4, s[10:11], 56
	v_cmp_gt_u64_e64 s5, s[10:11], 7
                                        ; implicit-def: $vgpr11_vgpr12
                                        ; implicit-def: $sgpr23
	s_and_b32 s4, s4, exec_lo
	s_cselect_b32 s17, s11, 0
	s_cselect_b32 s16, s10, 56
	s_and_b32 vcc_lo, exec_lo, s5
	s_mov_b32 s4, -1
	s_cbranch_vccz .LBB3_997
; %bb.991:                              ;   in Loop: Header=BB3_990 Depth=1
	s_andn2_b32 vcc_lo, exec_lo, s4
	s_mov_b64 s[4:5], s[6:7]
	s_cbranch_vccz .LBB3_1001
.LBB3_992:                              ;   in Loop: Header=BB3_990 Depth=1
	s_cmp_gt_u32 s23, 7
	s_cbranch_scc1 .LBB3_1002
.LBB3_993:                              ;   in Loop: Header=BB3_990 Depth=1
	v_mov_b32_e32 v13, 0
	v_mov_b32_e32 v14, 0
	s_cmp_eq_u32 s23, 0
	s_cbranch_scc1 .LBB3_996
; %bb.994:                              ;   in Loop: Header=BB3_990 Depth=1
	s_mov_b64 s[18:19], 0
	s_mov_b64 s[20:21], 0
.LBB3_995:                              ;   Parent Loop BB3_990 Depth=1
                                        ; =>  This Inner Loop Header: Depth=2
	s_add_u32 s24, s4, s20
	s_addc_u32 s25, s5, s21
	s_add_u32 s20, s20, 1
	global_load_ubyte v4, v6, s[24:25]
	s_addc_u32 s21, s21, 0
	s_waitcnt vmcnt(0)
	v_and_b32_e32 v5, 0xffff, v4
	v_lshlrev_b64 v[4:5], s18, v[5:6]
	s_add_u32 s18, s18, 8
	s_addc_u32 s19, s19, 0
	s_cmp_lg_u32 s23, s20
	v_or_b32_e32 v13, v4, v13
	v_or_b32_e32 v14, v5, v14
	s_cbranch_scc1 .LBB3_995
.LBB3_996:                              ;   in Loop: Header=BB3_990 Depth=1
	s_mov_b32 s24, 0
	s_cbranch_execz .LBB3_1003
	s_branch .LBB3_1004
.LBB3_997:                              ;   in Loop: Header=BB3_990 Depth=1
	v_mov_b32_e32 v11, 0
	v_mov_b32_e32 v12, 0
	s_cmp_eq_u64 s[10:11], 0
	s_mov_b64 s[4:5], 0
	s_cbranch_scc1 .LBB3_1000
; %bb.998:                              ;   in Loop: Header=BB3_990 Depth=1
	v_mov_b32_e32 v11, 0
	v_mov_b32_e32 v12, 0
	s_lshl_b64 s[18:19], s[16:17], 3
	s_mov_b64 s[20:21], s[6:7]
.LBB3_999:                              ;   Parent Loop BB3_990 Depth=1
                                        ; =>  This Inner Loop Header: Depth=2
	global_load_ubyte v4, v6, s[20:21]
	s_waitcnt vmcnt(0)
	v_and_b32_e32 v5, 0xffff, v4
	v_lshlrev_b64 v[4:5], s4, v[5:6]
	s_add_u32 s4, s4, 8
	s_addc_u32 s5, s5, 0
	s_add_u32 s20, s20, 1
	s_addc_u32 s21, s21, 0
	s_cmp_lg_u32 s18, s4
	v_or_b32_e32 v11, v4, v11
	v_or_b32_e32 v12, v5, v12
	s_cbranch_scc1 .LBB3_999
.LBB3_1000:                             ;   in Loop: Header=BB3_990 Depth=1
	s_mov_b32 s23, 0
	s_mov_b64 s[4:5], s[6:7]
	s_cbranch_execnz .LBB3_992
.LBB3_1001:                             ;   in Loop: Header=BB3_990 Depth=1
	global_load_dwordx2 v[11:12], v6, s[6:7]
	s_add_i32 s23, s16, -8
	s_add_u32 s4, s6, 8
	s_addc_u32 s5, s7, 0
	s_cmp_gt_u32 s23, 7
	s_cbranch_scc0 .LBB3_993
.LBB3_1002:                             ;   in Loop: Header=BB3_990 Depth=1
                                        ; implicit-def: $vgpr13_vgpr14
                                        ; implicit-def: $sgpr24
.LBB3_1003:                             ;   in Loop: Header=BB3_990 Depth=1
	global_load_dwordx2 v[13:14], v6, s[4:5]
	s_add_i32 s24, s23, -8
	s_add_u32 s4, s4, 8
	s_addc_u32 s5, s5, 0
.LBB3_1004:                             ;   in Loop: Header=BB3_990 Depth=1
	s_cmp_gt_u32 s24, 7
	s_cbranch_scc1 .LBB3_1009
; %bb.1005:                             ;   in Loop: Header=BB3_990 Depth=1
	v_mov_b32_e32 v15, 0
	v_mov_b32_e32 v16, 0
	s_cmp_eq_u32 s24, 0
	s_cbranch_scc1 .LBB3_1008
; %bb.1006:                             ;   in Loop: Header=BB3_990 Depth=1
	s_mov_b64 s[18:19], 0
	s_mov_b64 s[20:21], 0
.LBB3_1007:                             ;   Parent Loop BB3_990 Depth=1
                                        ; =>  This Inner Loop Header: Depth=2
	s_add_u32 vcc_lo, s4, s20
	s_addc_u32 vcc_hi, s5, s21
	s_add_u32 s20, s20, 1
	global_load_ubyte v4, v6, vcc
	s_addc_u32 s21, s21, 0
	s_waitcnt vmcnt(0)
	v_and_b32_e32 v5, 0xffff, v4
	v_lshlrev_b64 v[4:5], s18, v[5:6]
	s_add_u32 s18, s18, 8
	s_addc_u32 s19, s19, 0
	s_cmp_lg_u32 s24, s20
	v_or_b32_e32 v15, v4, v15
	v_or_b32_e32 v16, v5, v16
	s_cbranch_scc1 .LBB3_1007
.LBB3_1008:                             ;   in Loop: Header=BB3_990 Depth=1
	s_mov_b32 s23, 0
	s_cbranch_execz .LBB3_1010
	s_branch .LBB3_1011
.LBB3_1009:                             ;   in Loop: Header=BB3_990 Depth=1
                                        ; implicit-def: $sgpr23
.LBB3_1010:                             ;   in Loop: Header=BB3_990 Depth=1
	global_load_dwordx2 v[15:16], v6, s[4:5]
	s_add_i32 s23, s24, -8
	s_add_u32 s4, s4, 8
	s_addc_u32 s5, s5, 0
.LBB3_1011:                             ;   in Loop: Header=BB3_990 Depth=1
	s_cmp_gt_u32 s23, 7
	s_cbranch_scc1 .LBB3_1016
; %bb.1012:                             ;   in Loop: Header=BB3_990 Depth=1
	v_mov_b32_e32 v17, 0
	v_mov_b32_e32 v18, 0
	s_cmp_eq_u32 s23, 0
	s_cbranch_scc1 .LBB3_1015
; %bb.1013:                             ;   in Loop: Header=BB3_990 Depth=1
	s_mov_b64 s[18:19], 0
	s_mov_b64 s[20:21], 0
.LBB3_1014:                             ;   Parent Loop BB3_990 Depth=1
                                        ; =>  This Inner Loop Header: Depth=2
	s_add_u32 s24, s4, s20
	s_addc_u32 s25, s5, s21
	s_add_u32 s20, s20, 1
	global_load_ubyte v4, v6, s[24:25]
	s_addc_u32 s21, s21, 0
	s_waitcnt vmcnt(0)
	v_and_b32_e32 v5, 0xffff, v4
	v_lshlrev_b64 v[4:5], s18, v[5:6]
	s_add_u32 s18, s18, 8
	s_addc_u32 s19, s19, 0
	s_cmp_lg_u32 s23, s20
	v_or_b32_e32 v17, v4, v17
	v_or_b32_e32 v18, v5, v18
	s_cbranch_scc1 .LBB3_1014
.LBB3_1015:                             ;   in Loop: Header=BB3_990 Depth=1
	s_mov_b32 s24, 0
	s_cbranch_execz .LBB3_1017
	s_branch .LBB3_1018
.LBB3_1016:                             ;   in Loop: Header=BB3_990 Depth=1
                                        ; implicit-def: $vgpr17_vgpr18
                                        ; implicit-def: $sgpr24
.LBB3_1017:                             ;   in Loop: Header=BB3_990 Depth=1
	global_load_dwordx2 v[17:18], v6, s[4:5]
	s_add_i32 s24, s23, -8
	s_add_u32 s4, s4, 8
	s_addc_u32 s5, s5, 0
.LBB3_1018:                             ;   in Loop: Header=BB3_990 Depth=1
	s_cmp_gt_u32 s24, 7
	s_cbranch_scc1 .LBB3_1023
; %bb.1019:                             ;   in Loop: Header=BB3_990 Depth=1
	v_mov_b32_e32 v19, 0
	v_mov_b32_e32 v20, 0
	s_cmp_eq_u32 s24, 0
	s_cbranch_scc1 .LBB3_1022
; %bb.1020:                             ;   in Loop: Header=BB3_990 Depth=1
	s_mov_b64 s[18:19], 0
	s_mov_b64 s[20:21], 0
.LBB3_1021:                             ;   Parent Loop BB3_990 Depth=1
                                        ; =>  This Inner Loop Header: Depth=2
	s_add_u32 vcc_lo, s4, s20
	s_addc_u32 vcc_hi, s5, s21
	s_add_u32 s20, s20, 1
	global_load_ubyte v4, v6, vcc
	s_addc_u32 s21, s21, 0
	s_waitcnt vmcnt(0)
	v_and_b32_e32 v5, 0xffff, v4
	v_lshlrev_b64 v[4:5], s18, v[5:6]
	s_add_u32 s18, s18, 8
	s_addc_u32 s19, s19, 0
	s_cmp_lg_u32 s24, s20
	v_or_b32_e32 v19, v4, v19
	v_or_b32_e32 v20, v5, v20
	s_cbranch_scc1 .LBB3_1021
.LBB3_1022:                             ;   in Loop: Header=BB3_990 Depth=1
	s_mov_b32 s23, 0
	s_cbranch_execz .LBB3_1024
	s_branch .LBB3_1025
.LBB3_1023:                             ;   in Loop: Header=BB3_990 Depth=1
                                        ; implicit-def: $sgpr23
.LBB3_1024:                             ;   in Loop: Header=BB3_990 Depth=1
	global_load_dwordx2 v[19:20], v6, s[4:5]
	s_add_i32 s23, s24, -8
	s_add_u32 s4, s4, 8
	s_addc_u32 s5, s5, 0
.LBB3_1025:                             ;   in Loop: Header=BB3_990 Depth=1
	s_cmp_gt_u32 s23, 7
	s_cbranch_scc1 .LBB3_1030
; %bb.1026:                             ;   in Loop: Header=BB3_990 Depth=1
	v_mov_b32_e32 v21, 0
	v_mov_b32_e32 v22, 0
	s_cmp_eq_u32 s23, 0
	s_cbranch_scc1 .LBB3_1029
; %bb.1027:                             ;   in Loop: Header=BB3_990 Depth=1
	s_mov_b64 s[18:19], 0
	s_mov_b64 s[20:21], 0
.LBB3_1028:                             ;   Parent Loop BB3_990 Depth=1
                                        ; =>  This Inner Loop Header: Depth=2
	s_add_u32 s24, s4, s20
	s_addc_u32 s25, s5, s21
	s_add_u32 s20, s20, 1
	global_load_ubyte v4, v6, s[24:25]
	s_addc_u32 s21, s21, 0
	s_waitcnt vmcnt(0)
	v_and_b32_e32 v5, 0xffff, v4
	v_lshlrev_b64 v[4:5], s18, v[5:6]
	s_add_u32 s18, s18, 8
	s_addc_u32 s19, s19, 0
	s_cmp_lg_u32 s23, s20
	v_or_b32_e32 v21, v4, v21
	v_or_b32_e32 v22, v5, v22
	s_cbranch_scc1 .LBB3_1028
.LBB3_1029:                             ;   in Loop: Header=BB3_990 Depth=1
	s_mov_b32 s24, 0
	s_cbranch_execz .LBB3_1031
	s_branch .LBB3_1032
.LBB3_1030:                             ;   in Loop: Header=BB3_990 Depth=1
                                        ; implicit-def: $vgpr21_vgpr22
                                        ; implicit-def: $sgpr24
.LBB3_1031:                             ;   in Loop: Header=BB3_990 Depth=1
	global_load_dwordx2 v[21:22], v6, s[4:5]
	s_add_i32 s24, s23, -8
	s_add_u32 s4, s4, 8
	s_addc_u32 s5, s5, 0
.LBB3_1032:                             ;   in Loop: Header=BB3_990 Depth=1
	s_cmp_gt_u32 s24, 7
	s_cbranch_scc1 .LBB3_1037
; %bb.1033:                             ;   in Loop: Header=BB3_990 Depth=1
	v_mov_b32_e32 v23, 0
	v_mov_b32_e32 v24, 0
	s_cmp_eq_u32 s24, 0
	s_cbranch_scc1 .LBB3_1036
; %bb.1034:                             ;   in Loop: Header=BB3_990 Depth=1
	s_mov_b64 s[18:19], 0
	s_mov_b64 s[20:21], s[4:5]
.LBB3_1035:                             ;   Parent Loop BB3_990 Depth=1
                                        ; =>  This Inner Loop Header: Depth=2
	global_load_ubyte v4, v6, s[20:21]
	s_add_i32 s24, s24, -1
	s_waitcnt vmcnt(0)
	v_and_b32_e32 v5, 0xffff, v4
	v_lshlrev_b64 v[4:5], s18, v[5:6]
	s_add_u32 s18, s18, 8
	s_addc_u32 s19, s19, 0
	s_add_u32 s20, s20, 1
	s_addc_u32 s21, s21, 0
	s_cmp_lg_u32 s24, 0
	v_or_b32_e32 v23, v4, v23
	v_or_b32_e32 v24, v5, v24
	s_cbranch_scc1 .LBB3_1035
.LBB3_1036:                             ;   in Loop: Header=BB3_990 Depth=1
	s_cbranch_execz .LBB3_1038
	s_branch .LBB3_1039
.LBB3_1037:                             ;   in Loop: Header=BB3_990 Depth=1
.LBB3_1038:                             ;   in Loop: Header=BB3_990 Depth=1
	global_load_dwordx2 v[23:24], v6, s[4:5]
.LBB3_1039:                             ;   in Loop: Header=BB3_990 Depth=1
	v_readfirstlane_b32 s4, v39
	s_waitcnt vmcnt(0)
	v_mov_b32_e32 v4, 0
	v_mov_b32_e32 v5, 0
	v_cmp_eq_u32_e64 s4, s4, v39
	s_and_saveexec_b32 s5, s4
	s_cbranch_execz .LBB3_1045
; %bb.1040:                             ;   in Loop: Header=BB3_990 Depth=1
	global_load_dwordx2 v[27:28], v6, s[26:27] offset:24 glc dlc
	s_waitcnt vmcnt(0)
	buffer_gl1_inv
	buffer_gl0_inv
	s_clause 0x1
	global_load_dwordx2 v[4:5], v6, s[26:27] offset:40
	global_load_dwordx2 v[9:10], v6, s[26:27]
	s_mov_b32 s18, exec_lo
	s_waitcnt vmcnt(1)
	v_and_b32_e32 v5, v5, v28
	v_and_b32_e32 v4, v4, v27
	v_mul_lo_u32 v5, v5, 24
	v_mul_hi_u32 v25, v4, 24
	v_mul_lo_u32 v4, v4, 24
	v_add_nc_u32_e32 v5, v25, v5
	s_waitcnt vmcnt(0)
	v_add_co_u32 v4, vcc_lo, v9, v4
	v_add_co_ci_u32_e32 v5, vcc_lo, v10, v5, vcc_lo
	global_load_dwordx2 v[25:26], v[4:5], off glc dlc
	s_waitcnt vmcnt(0)
	global_atomic_cmpswap_x2 v[4:5], v6, v[25:28], s[26:27] offset:24 glc
	s_waitcnt vmcnt(0)
	buffer_gl1_inv
	buffer_gl0_inv
	v_cmpx_ne_u64_e64 v[4:5], v[27:28]
	s_cbranch_execz .LBB3_1044
; %bb.1041:                             ;   in Loop: Header=BB3_990 Depth=1
	s_mov_b32 s19, 0
	.p2align	6
.LBB3_1042:                             ;   Parent Loop BB3_990 Depth=1
                                        ; =>  This Inner Loop Header: Depth=2
	s_sleep 1
	s_clause 0x1
	global_load_dwordx2 v[9:10], v6, s[26:27] offset:40
	global_load_dwordx2 v[25:26], v6, s[26:27]
	v_mov_b32_e32 v28, v5
	v_mov_b32_e32 v27, v4
	s_waitcnt vmcnt(1)
	v_and_b32_e32 v4, v9, v27
	v_and_b32_e32 v9, v10, v28
	s_waitcnt vmcnt(0)
	v_mad_u64_u32 v[4:5], null, v4, 24, v[25:26]
	v_mad_u64_u32 v[9:10], null, v9, 24, v[5:6]
	v_mov_b32_e32 v5, v9
	global_load_dwordx2 v[25:26], v[4:5], off glc dlc
	s_waitcnt vmcnt(0)
	global_atomic_cmpswap_x2 v[4:5], v6, v[25:28], s[26:27] offset:24 glc
	s_waitcnt vmcnt(0)
	buffer_gl1_inv
	buffer_gl0_inv
	v_cmp_eq_u64_e32 vcc_lo, v[4:5], v[27:28]
	s_or_b32 s19, vcc_lo, s19
	s_andn2_b32 exec_lo, exec_lo, s19
	s_cbranch_execnz .LBB3_1042
; %bb.1043:                             ;   in Loop: Header=BB3_990 Depth=1
	s_or_b32 exec_lo, exec_lo, s19
.LBB3_1044:                             ;   in Loop: Header=BB3_990 Depth=1
	s_or_b32 exec_lo, exec_lo, s18
.LBB3_1045:                             ;   in Loop: Header=BB3_990 Depth=1
	s_or_b32 exec_lo, exec_lo, s5
	s_clause 0x1
	global_load_dwordx2 v[9:10], v6, s[26:27] offset:40
	global_load_dwordx4 v[25:28], v6, s[26:27]
	v_readfirstlane_b32 s18, v4
	v_readfirstlane_b32 s19, v5
	s_mov_b32 s5, exec_lo
	s_waitcnt vmcnt(1)
	v_readfirstlane_b32 s20, v9
	v_readfirstlane_b32 s21, v10
	s_and_b64 s[20:21], s[18:19], s[20:21]
	s_mul_i32 s23, s21, 24
	s_mul_hi_u32 s24, s20, 24
	s_mul_i32 s25, s20, 24
	s_add_i32 s24, s24, s23
	s_waitcnt vmcnt(0)
	v_add_co_u32 v29, vcc_lo, v25, s25
	v_add_co_ci_u32_e32 v30, vcc_lo, s24, v26, vcc_lo
	s_and_saveexec_b32 s23, s4
	s_cbranch_execz .LBB3_1047
; %bb.1046:                             ;   in Loop: Header=BB3_990 Depth=1
	v_mov_b32_e32 v5, s5
	global_store_dwordx4 v[29:30], v[5:8], off offset:8
.LBB3_1047:                             ;   in Loop: Header=BB3_990 Depth=1
	s_or_b32 exec_lo, exec_lo, s23
	s_lshl_b64 s[20:21], s[20:21], 12
	v_cmp_gt_u64_e64 vcc_lo, s[10:11], 56
	v_or_b32_e32 v5, v2, v31
	v_add_co_u32 v27, s5, v27, s20
	v_add_co_ci_u32_e64 v28, s5, s21, v28, s5
	s_lshl_b32 s5, s16, 2
	v_or_b32_e32 v4, 0, v3
	v_cndmask_b32_e32 v2, v5, v2, vcc_lo
	s_add_i32 s5, s5, 28
	v_readfirstlane_b32 s20, v27
	s_and_b32 s5, s5, 0x1e0
	v_cndmask_b32_e32 v10, v4, v3, vcc_lo
	v_readfirstlane_b32 s21, v28
	v_and_or_b32 v9, 0xffffff1f, v2, s5
	global_store_dwordx4 v38, v[9:12], s[20:21]
	global_store_dwordx4 v38, v[13:16], s[20:21] offset:16
	global_store_dwordx4 v38, v[17:20], s[20:21] offset:32
	;; [unrolled: 1-line block ×3, first 2 shown]
	s_and_saveexec_b32 s5, s4
	s_cbranch_execz .LBB3_1055
; %bb.1048:                             ;   in Loop: Header=BB3_990 Depth=1
	s_clause 0x1
	global_load_dwordx2 v[13:14], v6, s[26:27] offset:32 glc dlc
	global_load_dwordx2 v[2:3], v6, s[26:27] offset:40
	v_mov_b32_e32 v11, s18
	v_mov_b32_e32 v12, s19
	s_waitcnt vmcnt(0)
	v_readfirstlane_b32 s20, v2
	v_readfirstlane_b32 s21, v3
	s_and_b64 s[20:21], s[20:21], s[18:19]
	s_mul_i32 s21, s21, 24
	s_mul_hi_u32 s23, s20, 24
	s_mul_i32 s20, s20, 24
	s_add_i32 s23, s23, s21
	v_add_co_u32 v9, vcc_lo, v25, s20
	v_add_co_ci_u32_e32 v10, vcc_lo, s23, v26, vcc_lo
	s_mov_b32 s20, exec_lo
	global_store_dwordx2 v[9:10], v[13:14], off
	s_waitcnt_vscnt null, 0x0
	global_atomic_cmpswap_x2 v[4:5], v6, v[11:14], s[26:27] offset:32 glc
	s_waitcnt vmcnt(0)
	v_cmpx_ne_u64_e64 v[4:5], v[13:14]
	s_cbranch_execz .LBB3_1051
; %bb.1049:                             ;   in Loop: Header=BB3_990 Depth=1
	s_mov_b32 s21, 0
.LBB3_1050:                             ;   Parent Loop BB3_990 Depth=1
                                        ; =>  This Inner Loop Header: Depth=2
	v_mov_b32_e32 v2, s18
	v_mov_b32_e32 v3, s19
	s_sleep 1
	global_store_dwordx2 v[9:10], v[4:5], off
	s_waitcnt_vscnt null, 0x0
	global_atomic_cmpswap_x2 v[2:3], v6, v[2:5], s[26:27] offset:32 glc
	s_waitcnt vmcnt(0)
	v_cmp_eq_u64_e32 vcc_lo, v[2:3], v[4:5]
	v_mov_b32_e32 v5, v3
	v_mov_b32_e32 v4, v2
	s_or_b32 s21, vcc_lo, s21
	s_andn2_b32 exec_lo, exec_lo, s21
	s_cbranch_execnz .LBB3_1050
.LBB3_1051:                             ;   in Loop: Header=BB3_990 Depth=1
	s_or_b32 exec_lo, exec_lo, s20
	global_load_dwordx2 v[2:3], v6, s[26:27] offset:16
	s_mov_b32 s21, exec_lo
	s_mov_b32 s20, exec_lo
	v_mbcnt_lo_u32_b32 v4, s21, 0
	v_cmpx_eq_u32_e32 0, v4
	s_cbranch_execz .LBB3_1053
; %bb.1052:                             ;   in Loop: Header=BB3_990 Depth=1
	s_bcnt1_i32_b32 s21, s21
	v_mov_b32_e32 v5, s21
	s_waitcnt vmcnt(0)
	global_atomic_add_x2 v[2:3], v[5:6], off offset:8
.LBB3_1053:                             ;   in Loop: Header=BB3_990 Depth=1
	s_or_b32 exec_lo, exec_lo, s20
	s_waitcnt vmcnt(0)
	global_load_dwordx2 v[9:10], v[2:3], off offset:16
	s_waitcnt vmcnt(0)
	v_cmp_eq_u64_e32 vcc_lo, 0, v[9:10]
	s_cbranch_vccnz .LBB3_1055
; %bb.1054:                             ;   in Loop: Header=BB3_990 Depth=1
	global_load_dword v5, v[2:3], off offset:24
	s_waitcnt vmcnt(0)
	v_and_b32_e32 v2, 0x7fffff, v5
	s_waitcnt_vscnt null, 0x0
	global_store_dwordx2 v[9:10], v[5:6], off
	v_readfirstlane_b32 m0, v2
	s_sendmsg sendmsg(MSG_INTERRUPT)
.LBB3_1055:                             ;   in Loop: Header=BB3_990 Depth=1
	s_or_b32 exec_lo, exec_lo, s5
	v_add_co_u32 v2, vcc_lo, v27, v38
	v_add_co_ci_u32_e32 v3, vcc_lo, 0, v28, vcc_lo
	s_branch .LBB3_1059
	.p2align	6
.LBB3_1056:                             ;   in Loop: Header=BB3_1059 Depth=2
	s_or_b32 exec_lo, exec_lo, s5
	v_readfirstlane_b32 s5, v4
	s_cmp_eq_u32 s5, 0
	s_cbranch_scc1 .LBB3_1058
; %bb.1057:                             ;   in Loop: Header=BB3_1059 Depth=2
	s_sleep 1
	s_cbranch_execnz .LBB3_1059
	s_branch .LBB3_1061
	.p2align	6
.LBB3_1058:                             ;   in Loop: Header=BB3_990 Depth=1
	s_branch .LBB3_1061
.LBB3_1059:                             ;   Parent Loop BB3_990 Depth=1
                                        ; =>  This Inner Loop Header: Depth=2
	v_mov_b32_e32 v4, 1
	s_and_saveexec_b32 s5, s4
	s_cbranch_execz .LBB3_1056
; %bb.1060:                             ;   in Loop: Header=BB3_1059 Depth=2
	global_load_dword v4, v[29:30], off offset:20 glc dlc
	s_waitcnt vmcnt(0)
	buffer_gl1_inv
	buffer_gl0_inv
	v_and_b32_e32 v4, 1, v4
	s_branch .LBB3_1056
.LBB3_1061:                             ;   in Loop: Header=BB3_990 Depth=1
	global_load_dwordx4 v[2:5], v[2:3], off
	s_and_saveexec_b32 s5, s4
	s_cbranch_execz .LBB3_989
; %bb.1062:                             ;   in Loop: Header=BB3_990 Depth=1
	s_clause 0x2
	global_load_dwordx2 v[4:5], v6, s[26:27] offset:40
	global_load_dwordx2 v[13:14], v6, s[26:27] offset:24 glc dlc
	global_load_dwordx2 v[11:12], v6, s[26:27]
	s_waitcnt vmcnt(2)
	v_add_co_u32 v15, vcc_lo, v4, 1
	v_add_co_ci_u32_e32 v16, vcc_lo, 0, v5, vcc_lo
	v_add_co_u32 v9, vcc_lo, v15, s18
	v_add_co_ci_u32_e32 v10, vcc_lo, s19, v16, vcc_lo
	v_cmp_eq_u64_e32 vcc_lo, 0, v[9:10]
	v_cndmask_b32_e32 v10, v10, v16, vcc_lo
	v_cndmask_b32_e32 v9, v9, v15, vcc_lo
	v_and_b32_e32 v5, v10, v5
	v_and_b32_e32 v4, v9, v4
	v_mul_lo_u32 v5, v5, 24
	v_mul_hi_u32 v15, v4, 24
	v_mul_lo_u32 v4, v4, 24
	v_add_nc_u32_e32 v5, v15, v5
	s_waitcnt vmcnt(0)
	v_add_co_u32 v4, vcc_lo, v11, v4
	v_mov_b32_e32 v11, v13
	v_add_co_ci_u32_e32 v5, vcc_lo, v12, v5, vcc_lo
	v_mov_b32_e32 v12, v14
	global_store_dwordx2 v[4:5], v[13:14], off
	s_waitcnt_vscnt null, 0x0
	global_atomic_cmpswap_x2 v[11:12], v6, v[9:12], s[26:27] offset:24 glc
	s_waitcnt vmcnt(0)
	v_cmp_ne_u64_e32 vcc_lo, v[11:12], v[13:14]
	s_and_b32 exec_lo, exec_lo, vcc_lo
	s_cbranch_execz .LBB3_989
; %bb.1063:                             ;   in Loop: Header=BB3_990 Depth=1
	s_mov_b32 s4, 0
.LBB3_1064:                             ;   Parent Loop BB3_990 Depth=1
                                        ; =>  This Inner Loop Header: Depth=2
	s_sleep 1
	global_store_dwordx2 v[4:5], v[11:12], off
	s_waitcnt_vscnt null, 0x0
	global_atomic_cmpswap_x2 v[13:14], v6, v[9:12], s[26:27] offset:24 glc
	s_waitcnt vmcnt(0)
	v_cmp_eq_u64_e32 vcc_lo, v[13:14], v[11:12]
	v_mov_b32_e32 v11, v13
	v_mov_b32_e32 v12, v14
	s_or_b32 s4, vcc_lo, s4
	s_andn2_b32 exec_lo, exec_lo, s4
	s_cbranch_execnz .LBB3_1064
	s_branch .LBB3_989
.LBB3_1065:
	s_branch .LBB3_1094
.LBB3_1066:
                                        ; implicit-def: $vgpr2_vgpr3
	s_cbranch_execz .LBB3_1094
; %bb.1067:
	v_readfirstlane_b32 s4, v39
	v_mov_b32_e32 v8, 0
	v_mov_b32_e32 v9, 0
	v_cmp_eq_u32_e64 s4, s4, v39
	s_and_saveexec_b32 s5, s4
	s_cbranch_execz .LBB3_1073
; %bb.1068:
	s_waitcnt vmcnt(0)
	v_mov_b32_e32 v2, 0
	s_mov_b32 s6, exec_lo
	global_load_dwordx2 v[5:6], v2, s[26:27] offset:24 glc dlc
	s_waitcnt vmcnt(0)
	buffer_gl1_inv
	buffer_gl0_inv
	s_clause 0x1
	global_load_dwordx2 v[3:4], v2, s[26:27] offset:40
	global_load_dwordx2 v[7:8], v2, s[26:27]
	s_waitcnt vmcnt(1)
	v_and_b32_e32 v4, v4, v6
	v_and_b32_e32 v3, v3, v5
	v_mul_lo_u32 v4, v4, 24
	v_mul_hi_u32 v9, v3, 24
	v_mul_lo_u32 v3, v3, 24
	v_add_nc_u32_e32 v4, v9, v4
	s_waitcnt vmcnt(0)
	v_add_co_u32 v3, vcc_lo, v7, v3
	v_add_co_ci_u32_e32 v4, vcc_lo, v8, v4, vcc_lo
	global_load_dwordx2 v[3:4], v[3:4], off glc dlc
	s_waitcnt vmcnt(0)
	global_atomic_cmpswap_x2 v[8:9], v2, v[3:6], s[26:27] offset:24 glc
	s_waitcnt vmcnt(0)
	buffer_gl1_inv
	buffer_gl0_inv
	v_cmpx_ne_u64_e64 v[8:9], v[5:6]
	s_cbranch_execz .LBB3_1072
; %bb.1069:
	s_mov_b32 s7, 0
	.p2align	6
.LBB3_1070:                             ; =>This Inner Loop Header: Depth=1
	s_sleep 1
	s_clause 0x1
	global_load_dwordx2 v[3:4], v2, s[26:27] offset:40
	global_load_dwordx2 v[10:11], v2, s[26:27]
	v_mov_b32_e32 v5, v8
	v_mov_b32_e32 v6, v9
	s_waitcnt vmcnt(1)
	v_and_b32_e32 v3, v3, v5
	v_and_b32_e32 v4, v4, v6
	s_waitcnt vmcnt(0)
	v_mad_u64_u32 v[7:8], null, v3, 24, v[10:11]
	v_mov_b32_e32 v3, v8
	v_mad_u64_u32 v[3:4], null, v4, 24, v[3:4]
	v_mov_b32_e32 v8, v3
	global_load_dwordx2 v[3:4], v[7:8], off glc dlc
	s_waitcnt vmcnt(0)
	global_atomic_cmpswap_x2 v[8:9], v2, v[3:6], s[26:27] offset:24 glc
	s_waitcnt vmcnt(0)
	buffer_gl1_inv
	buffer_gl0_inv
	v_cmp_eq_u64_e32 vcc_lo, v[8:9], v[5:6]
	s_or_b32 s7, vcc_lo, s7
	s_andn2_b32 exec_lo, exec_lo, s7
	s_cbranch_execnz .LBB3_1070
; %bb.1071:
	s_or_b32 exec_lo, exec_lo, s7
.LBB3_1072:
	s_or_b32 exec_lo, exec_lo, s6
.LBB3_1073:
	s_or_b32 exec_lo, exec_lo, s5
	s_waitcnt vmcnt(0)
	v_mov_b32_e32 v2, 0
	v_readfirstlane_b32 s6, v8
	v_readfirstlane_b32 s7, v9
	s_mov_b32 s5, exec_lo
	s_clause 0x1
	global_load_dwordx2 v[10:11], v2, s[26:27] offset:40
	global_load_dwordx4 v[4:7], v2, s[26:27]
	s_waitcnt vmcnt(1)
	v_readfirstlane_b32 s10, v10
	v_readfirstlane_b32 s11, v11
	s_and_b64 s[10:11], s[6:7], s[10:11]
	s_mul_i32 s16, s11, 24
	s_mul_hi_u32 s17, s10, 24
	s_mul_i32 s18, s10, 24
	s_add_i32 s17, s17, s16
	s_waitcnt vmcnt(0)
	v_add_co_u32 v8, vcc_lo, v4, s18
	v_add_co_ci_u32_e32 v9, vcc_lo, s17, v5, vcc_lo
	s_and_saveexec_b32 s16, s4
	s_cbranch_execz .LBB3_1075
; %bb.1074:
	v_mov_b32_e32 v10, s5
	v_mov_b32_e32 v11, v2
	v_mov_b32_e32 v12, 2
	v_mov_b32_e32 v13, 1
	global_store_dwordx4 v[8:9], v[10:13], off offset:8
.LBB3_1075:
	s_or_b32 exec_lo, exec_lo, s16
	s_lshl_b64 s[10:11], s[10:11], 12
	s_mov_b32 s16, 0
	v_add_co_u32 v6, vcc_lo, v6, s10
	v_add_co_ci_u32_e32 v7, vcc_lo, s11, v7, vcc_lo
	s_mov_b32 s17, s16
	v_readfirstlane_b32 s10, v6
	v_add_co_u32 v6, vcc_lo, v6, v38
	s_mov_b32 s18, s16
	s_mov_b32 s19, s16
	v_and_or_b32 v0, 0xffffff1f, v0, 32
	v_mov_b32_e32 v3, v2
	v_readfirstlane_b32 s11, v7
	v_mov_b32_e32 v10, s16
	v_add_co_ci_u32_e32 v7, vcc_lo, 0, v7, vcc_lo
	v_mov_b32_e32 v11, s17
	v_mov_b32_e32 v12, s18
	;; [unrolled: 1-line block ×3, first 2 shown]
	global_store_dwordx4 v38, v[0:3], s[10:11]
	global_store_dwordx4 v38, v[10:13], s[10:11] offset:16
	global_store_dwordx4 v38, v[10:13], s[10:11] offset:32
	;; [unrolled: 1-line block ×3, first 2 shown]
	s_and_saveexec_b32 s5, s4
	s_cbranch_execz .LBB3_1083
; %bb.1076:
	v_mov_b32_e32 v10, 0
	v_mov_b32_e32 v11, s6
	;; [unrolled: 1-line block ×3, first 2 shown]
	s_clause 0x1
	global_load_dwordx2 v[13:14], v10, s[26:27] offset:32 glc dlc
	global_load_dwordx2 v[0:1], v10, s[26:27] offset:40
	s_waitcnt vmcnt(0)
	v_readfirstlane_b32 s10, v0
	v_readfirstlane_b32 s11, v1
	s_and_b64 s[10:11], s[10:11], s[6:7]
	s_mul_i32 s11, s11, 24
	s_mul_hi_u32 s16, s10, 24
	s_mul_i32 s10, s10, 24
	s_add_i32 s16, s16, s11
	v_add_co_u32 v4, vcc_lo, v4, s10
	v_add_co_ci_u32_e32 v5, vcc_lo, s16, v5, vcc_lo
	s_mov_b32 s10, exec_lo
	global_store_dwordx2 v[4:5], v[13:14], off
	s_waitcnt_vscnt null, 0x0
	global_atomic_cmpswap_x2 v[2:3], v10, v[11:14], s[26:27] offset:32 glc
	s_waitcnt vmcnt(0)
	v_cmpx_ne_u64_e64 v[2:3], v[13:14]
	s_cbranch_execz .LBB3_1079
; %bb.1077:
	s_mov_b32 s11, 0
.LBB3_1078:                             ; =>This Inner Loop Header: Depth=1
	v_mov_b32_e32 v0, s6
	v_mov_b32_e32 v1, s7
	s_sleep 1
	global_store_dwordx2 v[4:5], v[2:3], off
	s_waitcnt_vscnt null, 0x0
	global_atomic_cmpswap_x2 v[0:1], v10, v[0:3], s[26:27] offset:32 glc
	s_waitcnt vmcnt(0)
	v_cmp_eq_u64_e32 vcc_lo, v[0:1], v[2:3]
	v_mov_b32_e32 v3, v1
	v_mov_b32_e32 v2, v0
	s_or_b32 s11, vcc_lo, s11
	s_andn2_b32 exec_lo, exec_lo, s11
	s_cbranch_execnz .LBB3_1078
.LBB3_1079:
	s_or_b32 exec_lo, exec_lo, s10
	v_mov_b32_e32 v3, 0
	s_mov_b32 s11, exec_lo
	s_mov_b32 s10, exec_lo
	v_mbcnt_lo_u32_b32 v2, s11, 0
	global_load_dwordx2 v[0:1], v3, s[26:27] offset:16
	v_cmpx_eq_u32_e32 0, v2
	s_cbranch_execz .LBB3_1081
; %bb.1080:
	s_bcnt1_i32_b32 s11, s11
	v_mov_b32_e32 v2, s11
	s_waitcnt vmcnt(0)
	global_atomic_add_x2 v[0:1], v[2:3], off offset:8
.LBB3_1081:
	s_or_b32 exec_lo, exec_lo, s10
	s_waitcnt vmcnt(0)
	global_load_dwordx2 v[2:3], v[0:1], off offset:16
	s_waitcnt vmcnt(0)
	v_cmp_eq_u64_e32 vcc_lo, 0, v[2:3]
	s_cbranch_vccnz .LBB3_1083
; %bb.1082:
	global_load_dword v0, v[0:1], off offset:24
	v_mov_b32_e32 v1, 0
	s_waitcnt vmcnt(0)
	v_and_b32_e32 v4, 0x7fffff, v0
	s_waitcnt_vscnt null, 0x0
	global_store_dwordx2 v[2:3], v[0:1], off
	v_readfirstlane_b32 m0, v4
	s_sendmsg sendmsg(MSG_INTERRUPT)
.LBB3_1083:
	s_or_b32 exec_lo, exec_lo, s5
	s_branch .LBB3_1087
	.p2align	6
.LBB3_1084:                             ;   in Loop: Header=BB3_1087 Depth=1
	s_or_b32 exec_lo, exec_lo, s5
	v_readfirstlane_b32 s5, v0
	s_cmp_eq_u32 s5, 0
	s_cbranch_scc1 .LBB3_1086
; %bb.1085:                             ;   in Loop: Header=BB3_1087 Depth=1
	s_sleep 1
	s_cbranch_execnz .LBB3_1087
	s_branch .LBB3_1089
	.p2align	6
.LBB3_1086:
	s_branch .LBB3_1089
.LBB3_1087:                             ; =>This Inner Loop Header: Depth=1
	v_mov_b32_e32 v0, 1
	s_and_saveexec_b32 s5, s4
	s_cbranch_execz .LBB3_1084
; %bb.1088:                             ;   in Loop: Header=BB3_1087 Depth=1
	global_load_dword v0, v[8:9], off offset:20 glc dlc
	s_waitcnt vmcnt(0)
	buffer_gl1_inv
	buffer_gl0_inv
	v_and_b32_e32 v0, 1, v0
	s_branch .LBB3_1084
.LBB3_1089:
	global_load_dwordx2 v[2:3], v[6:7], off
	s_and_saveexec_b32 s5, s4
	s_cbranch_execz .LBB3_1093
; %bb.1090:
	v_mov_b32_e32 v8, 0
	s_clause 0x2
	global_load_dwordx2 v[0:1], v8, s[26:27] offset:40
	global_load_dwordx2 v[9:10], v8, s[26:27] offset:24 glc dlc
	global_load_dwordx2 v[6:7], v8, s[26:27]
	s_waitcnt vmcnt(2)
	v_add_co_u32 v11, vcc_lo, v0, 1
	v_add_co_ci_u32_e32 v12, vcc_lo, 0, v1, vcc_lo
	v_add_co_u32 v4, vcc_lo, v11, s6
	v_add_co_ci_u32_e32 v5, vcc_lo, s7, v12, vcc_lo
	v_cmp_eq_u64_e32 vcc_lo, 0, v[4:5]
	v_cndmask_b32_e32 v5, v5, v12, vcc_lo
	v_cndmask_b32_e32 v4, v4, v11, vcc_lo
	v_and_b32_e32 v1, v5, v1
	v_and_b32_e32 v0, v4, v0
	v_mul_lo_u32 v1, v1, 24
	v_mul_hi_u32 v11, v0, 24
	v_mul_lo_u32 v0, v0, 24
	v_add_nc_u32_e32 v1, v11, v1
	s_waitcnt vmcnt(0)
	v_add_co_u32 v0, vcc_lo, v6, v0
	v_mov_b32_e32 v6, v9
	v_add_co_ci_u32_e32 v1, vcc_lo, v7, v1, vcc_lo
	v_mov_b32_e32 v7, v10
	global_store_dwordx2 v[0:1], v[9:10], off
	s_waitcnt_vscnt null, 0x0
	global_atomic_cmpswap_x2 v[6:7], v8, v[4:7], s[26:27] offset:24 glc
	s_waitcnt vmcnt(0)
	v_cmp_ne_u64_e32 vcc_lo, v[6:7], v[9:10]
	s_and_b32 exec_lo, exec_lo, vcc_lo
	s_cbranch_execz .LBB3_1093
; %bb.1091:
	s_mov_b32 s4, 0
.LBB3_1092:                             ; =>This Inner Loop Header: Depth=1
	s_sleep 1
	global_store_dwordx2 v[0:1], v[6:7], off
	s_waitcnt_vscnt null, 0x0
	global_atomic_cmpswap_x2 v[9:10], v8, v[4:7], s[26:27] offset:24 glc
	s_waitcnt vmcnt(0)
	v_cmp_eq_u64_e32 vcc_lo, v[9:10], v[6:7]
	v_mov_b32_e32 v6, v9
	v_mov_b32_e32 v7, v10
	s_or_b32 s4, vcc_lo, s4
	s_andn2_b32 exec_lo, exec_lo, s4
	s_cbranch_execnz .LBB3_1092
.LBB3_1093:
	s_or_b32 exec_lo, exec_lo, s5
.LBB3_1094:
	v_readfirstlane_b32 s4, v39
	s_waitcnt vmcnt(0)
	v_mov_b32_e32 v0, 0
	v_mov_b32_e32 v1, 0
	v_cmp_eq_u32_e64 s4, s4, v39
	s_and_saveexec_b32 s5, s4
	s_cbranch_execz .LBB3_1100
; %bb.1095:
	v_mov_b32_e32 v4, 0
	s_mov_b32 s6, exec_lo
	global_load_dwordx2 v[7:8], v4, s[26:27] offset:24 glc dlc
	s_waitcnt vmcnt(0)
	buffer_gl1_inv
	buffer_gl0_inv
	s_clause 0x1
	global_load_dwordx2 v[0:1], v4, s[26:27] offset:40
	global_load_dwordx2 v[5:6], v4, s[26:27]
	s_waitcnt vmcnt(1)
	v_and_b32_e32 v1, v1, v8
	v_and_b32_e32 v0, v0, v7
	v_mul_lo_u32 v1, v1, 24
	v_mul_hi_u32 v9, v0, 24
	v_mul_lo_u32 v0, v0, 24
	v_add_nc_u32_e32 v1, v9, v1
	s_waitcnt vmcnt(0)
	v_add_co_u32 v0, vcc_lo, v5, v0
	v_add_co_ci_u32_e32 v1, vcc_lo, v6, v1, vcc_lo
	global_load_dwordx2 v[5:6], v[0:1], off glc dlc
	s_waitcnt vmcnt(0)
	global_atomic_cmpswap_x2 v[0:1], v4, v[5:8], s[26:27] offset:24 glc
	s_waitcnt vmcnt(0)
	buffer_gl1_inv
	buffer_gl0_inv
	v_cmpx_ne_u64_e64 v[0:1], v[7:8]
	s_cbranch_execz .LBB3_1099
; %bb.1096:
	s_mov_b32 s7, 0
	.p2align	6
.LBB3_1097:                             ; =>This Inner Loop Header: Depth=1
	s_sleep 1
	s_clause 0x1
	global_load_dwordx2 v[5:6], v4, s[26:27] offset:40
	global_load_dwordx2 v[9:10], v4, s[26:27]
	v_mov_b32_e32 v8, v1
	v_mov_b32_e32 v7, v0
	s_waitcnt vmcnt(1)
	v_and_b32_e32 v0, v5, v7
	v_and_b32_e32 v5, v6, v8
	s_waitcnt vmcnt(0)
	v_mad_u64_u32 v[0:1], null, v0, 24, v[9:10]
	v_mad_u64_u32 v[5:6], null, v5, 24, v[1:2]
	v_mov_b32_e32 v1, v5
	global_load_dwordx2 v[5:6], v[0:1], off glc dlc
	s_waitcnt vmcnt(0)
	global_atomic_cmpswap_x2 v[0:1], v4, v[5:8], s[26:27] offset:24 glc
	s_waitcnt vmcnt(0)
	buffer_gl1_inv
	buffer_gl0_inv
	v_cmp_eq_u64_e32 vcc_lo, v[0:1], v[7:8]
	s_or_b32 s7, vcc_lo, s7
	s_andn2_b32 exec_lo, exec_lo, s7
	s_cbranch_execnz .LBB3_1097
; %bb.1098:
	s_or_b32 exec_lo, exec_lo, s7
.LBB3_1099:
	s_or_b32 exec_lo, exec_lo, s6
.LBB3_1100:
	s_or_b32 exec_lo, exec_lo, s5
	v_mov_b32_e32 v5, 0
	v_readfirstlane_b32 s6, v0
	v_readfirstlane_b32 s7, v1
	s_mov_b32 s5, exec_lo
	s_clause 0x1
	global_load_dwordx2 v[10:11], v5, s[26:27] offset:40
	global_load_dwordx4 v[6:9], v5, s[26:27]
	s_waitcnt vmcnt(1)
	v_readfirstlane_b32 s10, v10
	v_readfirstlane_b32 s11, v11
	s_and_b64 s[10:11], s[6:7], s[10:11]
	s_mul_i32 s16, s11, 24
	s_mul_hi_u32 s17, s10, 24
	s_mul_i32 s18, s10, 24
	s_add_i32 s17, s17, s16
	s_waitcnt vmcnt(0)
	v_add_co_u32 v10, vcc_lo, v6, s18
	v_add_co_ci_u32_e32 v11, vcc_lo, s17, v7, vcc_lo
	s_and_saveexec_b32 s16, s4
	s_cbranch_execz .LBB3_1102
; %bb.1101:
	v_mov_b32_e32 v4, s5
	v_mov_b32_e32 v13, v5
	;; [unrolled: 1-line block ×5, first 2 shown]
	global_store_dwordx4 v[10:11], v[12:15], off offset:8
.LBB3_1102:
	s_or_b32 exec_lo, exec_lo, s16
	s_lshl_b64 s[10:11], s[10:11], 12
	s_mov_b32 s16, 0
	v_add_co_u32 v0, vcc_lo, v8, s10
	v_add_co_ci_u32_e32 v1, vcc_lo, s11, v9, vcc_lo
	s_mov_b32 s17, s16
	s_mov_b32 s18, s16
	;; [unrolled: 1-line block ×3, first 2 shown]
	v_and_or_b32 v2, 0xffffff1d, v2, 34
	v_mov_b32_e32 v4, 58
	v_readfirstlane_b32 s10, v0
	v_readfirstlane_b32 s11, v1
	v_mov_b32_e32 v12, s16
	v_mov_b32_e32 v13, s17
	;; [unrolled: 1-line block ×4, first 2 shown]
	global_store_dwordx4 v38, v[2:5], s[10:11]
	global_store_dwordx4 v38, v[12:15], s[10:11] offset:16
	global_store_dwordx4 v38, v[12:15], s[10:11] offset:32
	;; [unrolled: 1-line block ×3, first 2 shown]
	s_and_saveexec_b32 s5, s4
	s_cbranch_execz .LBB3_1110
; %bb.1103:
	v_mov_b32_e32 v8, 0
	v_mov_b32_e32 v12, s6
	;; [unrolled: 1-line block ×3, first 2 shown]
	s_clause 0x1
	global_load_dwordx2 v[14:15], v8, s[26:27] offset:32 glc dlc
	global_load_dwordx2 v[0:1], v8, s[26:27] offset:40
	s_waitcnt vmcnt(0)
	v_readfirstlane_b32 s10, v0
	v_readfirstlane_b32 s11, v1
	s_and_b64 s[10:11], s[10:11], s[6:7]
	s_mul_i32 s11, s11, 24
	s_mul_hi_u32 s16, s10, 24
	s_mul_i32 s10, s10, 24
	s_add_i32 s16, s16, s11
	v_add_co_u32 v4, vcc_lo, v6, s10
	v_add_co_ci_u32_e32 v5, vcc_lo, s16, v7, vcc_lo
	s_mov_b32 s10, exec_lo
	global_store_dwordx2 v[4:5], v[14:15], off
	s_waitcnt_vscnt null, 0x0
	global_atomic_cmpswap_x2 v[2:3], v8, v[12:15], s[26:27] offset:32 glc
	s_waitcnt vmcnt(0)
	v_cmpx_ne_u64_e64 v[2:3], v[14:15]
	s_cbranch_execz .LBB3_1106
; %bb.1104:
	s_mov_b32 s11, 0
.LBB3_1105:                             ; =>This Inner Loop Header: Depth=1
	v_mov_b32_e32 v0, s6
	v_mov_b32_e32 v1, s7
	s_sleep 1
	global_store_dwordx2 v[4:5], v[2:3], off
	s_waitcnt_vscnt null, 0x0
	global_atomic_cmpswap_x2 v[0:1], v8, v[0:3], s[26:27] offset:32 glc
	s_waitcnt vmcnt(0)
	v_cmp_eq_u64_e32 vcc_lo, v[0:1], v[2:3]
	v_mov_b32_e32 v3, v1
	v_mov_b32_e32 v2, v0
	s_or_b32 s11, vcc_lo, s11
	s_andn2_b32 exec_lo, exec_lo, s11
	s_cbranch_execnz .LBB3_1105
.LBB3_1106:
	s_or_b32 exec_lo, exec_lo, s10
	v_mov_b32_e32 v3, 0
	s_mov_b32 s11, exec_lo
	s_mov_b32 s10, exec_lo
	v_mbcnt_lo_u32_b32 v2, s11, 0
	global_load_dwordx2 v[0:1], v3, s[26:27] offset:16
	v_cmpx_eq_u32_e32 0, v2
	s_cbranch_execz .LBB3_1108
; %bb.1107:
	s_bcnt1_i32_b32 s11, s11
	v_mov_b32_e32 v2, s11
	s_waitcnt vmcnt(0)
	global_atomic_add_x2 v[0:1], v[2:3], off offset:8
.LBB3_1108:
	s_or_b32 exec_lo, exec_lo, s10
	s_waitcnt vmcnt(0)
	global_load_dwordx2 v[2:3], v[0:1], off offset:16
	s_waitcnt vmcnt(0)
	v_cmp_eq_u64_e32 vcc_lo, 0, v[2:3]
	s_cbranch_vccnz .LBB3_1110
; %bb.1109:
	global_load_dword v0, v[0:1], off offset:24
	v_mov_b32_e32 v1, 0
	s_waitcnt vmcnt(0)
	v_and_b32_e32 v4, 0x7fffff, v0
	s_waitcnt_vscnt null, 0x0
	global_store_dwordx2 v[2:3], v[0:1], off
	v_readfirstlane_b32 m0, v4
	s_sendmsg sendmsg(MSG_INTERRUPT)
.LBB3_1110:
	s_or_b32 exec_lo, exec_lo, s5
	s_branch .LBB3_1114
	.p2align	6
.LBB3_1111:                             ;   in Loop: Header=BB3_1114 Depth=1
	s_or_b32 exec_lo, exec_lo, s5
	v_readfirstlane_b32 s5, v0
	s_cmp_eq_u32 s5, 0
	s_cbranch_scc1 .LBB3_1113
; %bb.1112:                             ;   in Loop: Header=BB3_1114 Depth=1
	s_sleep 1
	s_cbranch_execnz .LBB3_1114
	s_branch .LBB3_1116
	.p2align	6
.LBB3_1113:
	s_branch .LBB3_1116
.LBB3_1114:                             ; =>This Inner Loop Header: Depth=1
	v_mov_b32_e32 v0, 1
	s_and_saveexec_b32 s5, s4
	s_cbranch_execz .LBB3_1111
; %bb.1115:                             ;   in Loop: Header=BB3_1114 Depth=1
	global_load_dword v0, v[10:11], off offset:20 glc dlc
	s_waitcnt vmcnt(0)
	buffer_gl1_inv
	buffer_gl0_inv
	v_and_b32_e32 v0, 1, v0
	s_branch .LBB3_1111
.LBB3_1116:
	s_and_saveexec_b32 s5, s4
	s_cbranch_execz .LBB3_1120
; %bb.1117:
	v_mov_b32_e32 v6, 0
	s_clause 0x2
	global_load_dwordx2 v[2:3], v6, s[26:27] offset:40
	global_load_dwordx2 v[7:8], v6, s[26:27] offset:24 glc dlc
	global_load_dwordx2 v[4:5], v6, s[26:27]
	s_waitcnt vmcnt(2)
	v_add_co_u32 v9, vcc_lo, v2, 1
	v_add_co_ci_u32_e32 v10, vcc_lo, 0, v3, vcc_lo
	v_add_co_u32 v0, vcc_lo, v9, s6
	v_add_co_ci_u32_e32 v1, vcc_lo, s7, v10, vcc_lo
	v_cmp_eq_u64_e32 vcc_lo, 0, v[0:1]
	v_cndmask_b32_e32 v1, v1, v10, vcc_lo
	v_cndmask_b32_e32 v0, v0, v9, vcc_lo
	v_and_b32_e32 v3, v1, v3
	v_and_b32_e32 v2, v0, v2
	v_mul_lo_u32 v3, v3, 24
	v_mul_hi_u32 v9, v2, 24
	v_mul_lo_u32 v2, v2, 24
	v_add_nc_u32_e32 v3, v9, v3
	s_waitcnt vmcnt(0)
	v_add_co_u32 v4, vcc_lo, v4, v2
	v_mov_b32_e32 v2, v7
	v_add_co_ci_u32_e32 v5, vcc_lo, v5, v3, vcc_lo
	v_mov_b32_e32 v3, v8
	global_store_dwordx2 v[4:5], v[7:8], off
	s_waitcnt_vscnt null, 0x0
	global_atomic_cmpswap_x2 v[2:3], v6, v[0:3], s[26:27] offset:24 glc
	s_waitcnt vmcnt(0)
	v_cmp_ne_u64_e32 vcc_lo, v[2:3], v[7:8]
	s_and_b32 exec_lo, exec_lo, vcc_lo
	s_cbranch_execz .LBB3_1120
; %bb.1118:
	s_mov_b32 s4, 0
.LBB3_1119:                             ; =>This Inner Loop Header: Depth=1
	s_sleep 1
	global_store_dwordx2 v[4:5], v[2:3], off
	s_waitcnt_vscnt null, 0x0
	global_atomic_cmpswap_x2 v[7:8], v6, v[0:3], s[26:27] offset:24 glc
	s_waitcnt vmcnt(0)
	v_cmp_eq_u64_e32 vcc_lo, v[7:8], v[2:3]
	v_mov_b32_e32 v2, v7
	v_mov_b32_e32 v3, v8
	s_or_b32 s4, vcc_lo, s4
	s_andn2_b32 exec_lo, exec_lo, s4
	s_cbranch_execnz .LBB3_1119
.LBB3_1120:
	s_or_b32 exec_lo, exec_lo, s5
	v_readfirstlane_b32 s4, v39
	v_mov_b32_e32 v6, 0
	v_mov_b32_e32 v7, 0
	v_cmp_eq_u32_e64 s4, s4, v39
	s_and_saveexec_b32 s5, s4
	s_cbranch_execz .LBB3_1126
; %bb.1121:
	v_mov_b32_e32 v0, 0
	s_mov_b32 s6, exec_lo
	global_load_dwordx2 v[3:4], v0, s[26:27] offset:24 glc dlc
	s_waitcnt vmcnt(0)
	buffer_gl1_inv
	buffer_gl0_inv
	s_clause 0x1
	global_load_dwordx2 v[1:2], v0, s[26:27] offset:40
	global_load_dwordx2 v[5:6], v0, s[26:27]
	s_waitcnt vmcnt(1)
	v_and_b32_e32 v2, v2, v4
	v_and_b32_e32 v1, v1, v3
	v_mul_lo_u32 v2, v2, 24
	v_mul_hi_u32 v7, v1, 24
	v_mul_lo_u32 v1, v1, 24
	v_add_nc_u32_e32 v2, v7, v2
	s_waitcnt vmcnt(0)
	v_add_co_u32 v1, vcc_lo, v5, v1
	v_add_co_ci_u32_e32 v2, vcc_lo, v6, v2, vcc_lo
	global_load_dwordx2 v[1:2], v[1:2], off glc dlc
	s_waitcnt vmcnt(0)
	global_atomic_cmpswap_x2 v[6:7], v0, v[1:4], s[26:27] offset:24 glc
	s_waitcnt vmcnt(0)
	buffer_gl1_inv
	buffer_gl0_inv
	v_cmpx_ne_u64_e64 v[6:7], v[3:4]
	s_cbranch_execz .LBB3_1125
; %bb.1122:
	s_mov_b32 s7, 0
	.p2align	6
.LBB3_1123:                             ; =>This Inner Loop Header: Depth=1
	s_sleep 1
	s_clause 0x1
	global_load_dwordx2 v[1:2], v0, s[26:27] offset:40
	global_load_dwordx2 v[8:9], v0, s[26:27]
	v_mov_b32_e32 v3, v6
	v_mov_b32_e32 v4, v7
	s_waitcnt vmcnt(1)
	v_and_b32_e32 v1, v1, v3
	v_and_b32_e32 v2, v2, v4
	s_waitcnt vmcnt(0)
	v_mad_u64_u32 v[5:6], null, v1, 24, v[8:9]
	v_mov_b32_e32 v1, v6
	v_mad_u64_u32 v[1:2], null, v2, 24, v[1:2]
	v_mov_b32_e32 v6, v1
	global_load_dwordx2 v[1:2], v[5:6], off glc dlc
	s_waitcnt vmcnt(0)
	global_atomic_cmpswap_x2 v[6:7], v0, v[1:4], s[26:27] offset:24 glc
	s_waitcnt vmcnt(0)
	buffer_gl1_inv
	buffer_gl0_inv
	v_cmp_eq_u64_e32 vcc_lo, v[6:7], v[3:4]
	s_or_b32 s7, vcc_lo, s7
	s_andn2_b32 exec_lo, exec_lo, s7
	s_cbranch_execnz .LBB3_1123
; %bb.1124:
	s_or_b32 exec_lo, exec_lo, s7
.LBB3_1125:
	s_or_b32 exec_lo, exec_lo, s6
.LBB3_1126:
	s_or_b32 exec_lo, exec_lo, s5
	v_mov_b32_e32 v5, 0
	v_readfirstlane_b32 s6, v6
	v_readfirstlane_b32 s7, v7
	s_mov_b32 s5, exec_lo
	s_clause 0x1
	global_load_dwordx2 v[8:9], v5, s[26:27] offset:40
	global_load_dwordx4 v[0:3], v5, s[26:27]
	s_waitcnt vmcnt(1)
	v_readfirstlane_b32 s10, v8
	v_readfirstlane_b32 s11, v9
	s_and_b64 s[10:11], s[6:7], s[10:11]
	s_mul_i32 s16, s11, 24
	s_mul_hi_u32 s17, s10, 24
	s_mul_i32 s18, s10, 24
	s_add_i32 s17, s17, s16
	s_waitcnt vmcnt(0)
	v_add_co_u32 v8, vcc_lo, v0, s18
	v_add_co_ci_u32_e32 v9, vcc_lo, s17, v1, vcc_lo
	s_and_saveexec_b32 s16, s4
	s_cbranch_execz .LBB3_1128
; %bb.1127:
	v_mov_b32_e32 v4, s5
	v_mov_b32_e32 v6, 2
	;; [unrolled: 1-line block ×3, first 2 shown]
	global_store_dwordx4 v[8:9], v[4:7], off offset:8
.LBB3_1128:
	s_or_b32 exec_lo, exec_lo, s16
	s_lshl_b64 s[10:11], s[10:11], 12
	s_mov_b32 s16, 0
	v_add_co_u32 v2, vcc_lo, v2, s10
	v_add_co_ci_u32_e32 v3, vcc_lo, s11, v3, vcc_lo
	s_mov_b32 s17, s16
	v_add_co_u32 v10, vcc_lo, v2, v38
	s_mov_b32 s18, s16
	s_mov_b32 s19, s16
	v_mov_b32_e32 v4, 33
	v_mov_b32_e32 v6, v5
	;; [unrolled: 1-line block ×3, first 2 shown]
	v_readfirstlane_b32 s10, v2
	v_readfirstlane_b32 s11, v3
	v_mov_b32_e32 v12, s16
	v_add_co_ci_u32_e32 v11, vcc_lo, 0, v3, vcc_lo
	v_mov_b32_e32 v13, s17
	v_mov_b32_e32 v14, s18
	;; [unrolled: 1-line block ×3, first 2 shown]
	global_store_dwordx4 v38, v[4:7], s[10:11]
	global_store_dwordx4 v38, v[12:15], s[10:11] offset:16
	global_store_dwordx4 v38, v[12:15], s[10:11] offset:32
	;; [unrolled: 1-line block ×3, first 2 shown]
	s_and_saveexec_b32 s5, s4
	s_cbranch_execz .LBB3_1136
; %bb.1129:
	v_mov_b32_e32 v6, 0
	v_mov_b32_e32 v12, s6
	;; [unrolled: 1-line block ×3, first 2 shown]
	s_clause 0x1
	global_load_dwordx2 v[14:15], v6, s[26:27] offset:32 glc dlc
	global_load_dwordx2 v[2:3], v6, s[26:27] offset:40
	s_waitcnt vmcnt(0)
	v_readfirstlane_b32 s10, v2
	v_readfirstlane_b32 s11, v3
	s_and_b64 s[10:11], s[10:11], s[6:7]
	s_mul_i32 s11, s11, 24
	s_mul_hi_u32 s16, s10, 24
	s_mul_i32 s10, s10, 24
	s_add_i32 s16, s16, s11
	v_add_co_u32 v4, vcc_lo, v0, s10
	v_add_co_ci_u32_e32 v5, vcc_lo, s16, v1, vcc_lo
	s_mov_b32 s10, exec_lo
	global_store_dwordx2 v[4:5], v[14:15], off
	s_waitcnt_vscnt null, 0x0
	global_atomic_cmpswap_x2 v[2:3], v6, v[12:15], s[26:27] offset:32 glc
	s_waitcnt vmcnt(0)
	v_cmpx_ne_u64_e64 v[2:3], v[14:15]
	s_cbranch_execz .LBB3_1132
; %bb.1130:
	s_mov_b32 s11, 0
.LBB3_1131:                             ; =>This Inner Loop Header: Depth=1
	v_mov_b32_e32 v0, s6
	v_mov_b32_e32 v1, s7
	s_sleep 1
	global_store_dwordx2 v[4:5], v[2:3], off
	s_waitcnt_vscnt null, 0x0
	global_atomic_cmpswap_x2 v[0:1], v6, v[0:3], s[26:27] offset:32 glc
	s_waitcnt vmcnt(0)
	v_cmp_eq_u64_e32 vcc_lo, v[0:1], v[2:3]
	v_mov_b32_e32 v3, v1
	v_mov_b32_e32 v2, v0
	s_or_b32 s11, vcc_lo, s11
	s_andn2_b32 exec_lo, exec_lo, s11
	s_cbranch_execnz .LBB3_1131
.LBB3_1132:
	s_or_b32 exec_lo, exec_lo, s10
	v_mov_b32_e32 v3, 0
	s_mov_b32 s11, exec_lo
	s_mov_b32 s10, exec_lo
	v_mbcnt_lo_u32_b32 v2, s11, 0
	global_load_dwordx2 v[0:1], v3, s[26:27] offset:16
	v_cmpx_eq_u32_e32 0, v2
	s_cbranch_execz .LBB3_1134
; %bb.1133:
	s_bcnt1_i32_b32 s11, s11
	v_mov_b32_e32 v2, s11
	s_waitcnt vmcnt(0)
	global_atomic_add_x2 v[0:1], v[2:3], off offset:8
.LBB3_1134:
	s_or_b32 exec_lo, exec_lo, s10
	s_waitcnt vmcnt(0)
	global_load_dwordx2 v[2:3], v[0:1], off offset:16
	s_waitcnt vmcnt(0)
	v_cmp_eq_u64_e32 vcc_lo, 0, v[2:3]
	s_cbranch_vccnz .LBB3_1136
; %bb.1135:
	global_load_dword v0, v[0:1], off offset:24
	v_mov_b32_e32 v1, 0
	s_waitcnt vmcnt(0)
	v_and_b32_e32 v4, 0x7fffff, v0
	s_waitcnt_vscnt null, 0x0
	global_store_dwordx2 v[2:3], v[0:1], off
	v_readfirstlane_b32 m0, v4
	s_sendmsg sendmsg(MSG_INTERRUPT)
.LBB3_1136:
	s_or_b32 exec_lo, exec_lo, s5
	s_branch .LBB3_1140
	.p2align	6
.LBB3_1137:                             ;   in Loop: Header=BB3_1140 Depth=1
	s_or_b32 exec_lo, exec_lo, s5
	v_readfirstlane_b32 s5, v0
	s_cmp_eq_u32 s5, 0
	s_cbranch_scc1 .LBB3_1139
; %bb.1138:                             ;   in Loop: Header=BB3_1140 Depth=1
	s_sleep 1
	s_cbranch_execnz .LBB3_1140
	s_branch .LBB3_1142
	.p2align	6
.LBB3_1139:
	s_branch .LBB3_1142
.LBB3_1140:                             ; =>This Inner Loop Header: Depth=1
	v_mov_b32_e32 v0, 1
	s_and_saveexec_b32 s5, s4
	s_cbranch_execz .LBB3_1137
; %bb.1141:                             ;   in Loop: Header=BB3_1140 Depth=1
	global_load_dword v0, v[8:9], off offset:20 glc dlc
	s_waitcnt vmcnt(0)
	buffer_gl1_inv
	buffer_gl0_inv
	v_and_b32_e32 v0, 1, v0
	s_branch .LBB3_1137
.LBB3_1142:
	global_load_dwordx2 v[0:1], v[10:11], off
	s_and_saveexec_b32 s5, s4
	s_cbranch_execz .LBB3_1146
; %bb.1143:
	v_mov_b32_e32 v8, 0
	s_clause 0x2
	global_load_dwordx2 v[4:5], v8, s[26:27] offset:40
	global_load_dwordx2 v[9:10], v8, s[26:27] offset:24 glc dlc
	global_load_dwordx2 v[6:7], v8, s[26:27]
	s_waitcnt vmcnt(2)
	v_add_co_u32 v11, vcc_lo, v4, 1
	v_add_co_ci_u32_e32 v12, vcc_lo, 0, v5, vcc_lo
	v_add_co_u32 v2, vcc_lo, v11, s6
	v_add_co_ci_u32_e32 v3, vcc_lo, s7, v12, vcc_lo
	v_cmp_eq_u64_e32 vcc_lo, 0, v[2:3]
	v_cndmask_b32_e32 v3, v3, v12, vcc_lo
	v_cndmask_b32_e32 v2, v2, v11, vcc_lo
	v_and_b32_e32 v5, v3, v5
	v_and_b32_e32 v4, v2, v4
	v_mul_lo_u32 v5, v5, 24
	v_mul_hi_u32 v11, v4, 24
	v_mul_lo_u32 v4, v4, 24
	v_add_nc_u32_e32 v5, v11, v5
	s_waitcnt vmcnt(0)
	v_add_co_u32 v6, vcc_lo, v6, v4
	v_mov_b32_e32 v4, v9
	v_add_co_ci_u32_e32 v7, vcc_lo, v7, v5, vcc_lo
	v_mov_b32_e32 v5, v10
	global_store_dwordx2 v[6:7], v[9:10], off
	s_waitcnt_vscnt null, 0x0
	global_atomic_cmpswap_x2 v[4:5], v8, v[2:5], s[26:27] offset:24 glc
	s_waitcnt vmcnt(0)
	v_cmp_ne_u64_e32 vcc_lo, v[4:5], v[9:10]
	s_and_b32 exec_lo, exec_lo, vcc_lo
	s_cbranch_execz .LBB3_1146
; %bb.1144:
	s_mov_b32 s4, 0
.LBB3_1145:                             ; =>This Inner Loop Header: Depth=1
	s_sleep 1
	global_store_dwordx2 v[6:7], v[4:5], off
	s_waitcnt_vscnt null, 0x0
	global_atomic_cmpswap_x2 v[9:10], v8, v[2:5], s[26:27] offset:24 glc
	s_waitcnt vmcnt(0)
	v_cmp_eq_u64_e32 vcc_lo, v[9:10], v[4:5]
	v_mov_b32_e32 v4, v9
	v_mov_b32_e32 v5, v10
	s_or_b32 s4, vcc_lo, s4
	s_andn2_b32 exec_lo, exec_lo, s4
	s_cbranch_execnz .LBB3_1145
.LBB3_1146:
	s_or_b32 exec_lo, exec_lo, s5
	s_and_b32 vcc_lo, exec_lo, s34
	s_cbranch_vccz .LBB3_1225
; %bb.1147:
	s_waitcnt vmcnt(0)
	v_and_b32_e32 v31, 2, v0
	v_mov_b32_e32 v6, 0
	v_and_b32_e32 v2, -3, v0
	v_mov_b32_e32 v3, v1
	v_mov_b32_e32 v7, 2
	;; [unrolled: 1-line block ×3, first 2 shown]
	s_mov_b64 s[10:11], 3
	s_getpc_b64 s[6:7]
	s_add_u32 s6, s6, .str.6@rel32@lo+4
	s_addc_u32 s7, s7, .str.6@rel32@hi+12
	s_branch .LBB3_1149
.LBB3_1148:                             ;   in Loop: Header=BB3_1149 Depth=1
	s_or_b32 exec_lo, exec_lo, s5
	s_sub_u32 s10, s10, s16
	s_subb_u32 s11, s11, s17
	s_add_u32 s6, s6, s16
	s_addc_u32 s7, s7, s17
	s_cmp_lg_u64 s[10:11], 0
	s_cbranch_scc0 .LBB3_1224
.LBB3_1149:                             ; =>This Loop Header: Depth=1
                                        ;     Child Loop BB3_1158 Depth 2
                                        ;     Child Loop BB3_1154 Depth 2
	;; [unrolled: 1-line block ×11, first 2 shown]
	v_cmp_lt_u64_e64 s4, s[10:11], 56
	v_cmp_gt_u64_e64 s5, s[10:11], 7
                                        ; implicit-def: $vgpr11_vgpr12
                                        ; implicit-def: $sgpr23
	s_and_b32 s4, s4, exec_lo
	s_cselect_b32 s17, s11, 0
	s_cselect_b32 s16, s10, 56
	s_and_b32 vcc_lo, exec_lo, s5
	s_mov_b32 s4, -1
	s_cbranch_vccz .LBB3_1156
; %bb.1150:                             ;   in Loop: Header=BB3_1149 Depth=1
	s_andn2_b32 vcc_lo, exec_lo, s4
	s_mov_b64 s[4:5], s[6:7]
	s_cbranch_vccz .LBB3_1160
.LBB3_1151:                             ;   in Loop: Header=BB3_1149 Depth=1
	s_cmp_gt_u32 s23, 7
	s_cbranch_scc1 .LBB3_1161
.LBB3_1152:                             ;   in Loop: Header=BB3_1149 Depth=1
	v_mov_b32_e32 v13, 0
	v_mov_b32_e32 v14, 0
	s_cmp_eq_u32 s23, 0
	s_cbranch_scc1 .LBB3_1155
; %bb.1153:                             ;   in Loop: Header=BB3_1149 Depth=1
	s_mov_b64 s[18:19], 0
	s_mov_b64 s[20:21], 0
.LBB3_1154:                             ;   Parent Loop BB3_1149 Depth=1
                                        ; =>  This Inner Loop Header: Depth=2
	s_add_u32 s24, s4, s20
	s_addc_u32 s25, s5, s21
	s_add_u32 s20, s20, 1
	global_load_ubyte v4, v6, s[24:25]
	s_addc_u32 s21, s21, 0
	s_waitcnt vmcnt(0)
	v_and_b32_e32 v5, 0xffff, v4
	v_lshlrev_b64 v[4:5], s18, v[5:6]
	s_add_u32 s18, s18, 8
	s_addc_u32 s19, s19, 0
	s_cmp_lg_u32 s23, s20
	v_or_b32_e32 v13, v4, v13
	v_or_b32_e32 v14, v5, v14
	s_cbranch_scc1 .LBB3_1154
.LBB3_1155:                             ;   in Loop: Header=BB3_1149 Depth=1
	s_mov_b32 s24, 0
	s_cbranch_execz .LBB3_1162
	s_branch .LBB3_1163
.LBB3_1156:                             ;   in Loop: Header=BB3_1149 Depth=1
	v_mov_b32_e32 v11, 0
	v_mov_b32_e32 v12, 0
	s_cmp_eq_u64 s[10:11], 0
	s_mov_b64 s[4:5], 0
	s_cbranch_scc1 .LBB3_1159
; %bb.1157:                             ;   in Loop: Header=BB3_1149 Depth=1
	v_mov_b32_e32 v11, 0
	v_mov_b32_e32 v12, 0
	s_lshl_b64 s[18:19], s[16:17], 3
	s_mov_b64 s[20:21], s[6:7]
.LBB3_1158:                             ;   Parent Loop BB3_1149 Depth=1
                                        ; =>  This Inner Loop Header: Depth=2
	global_load_ubyte v4, v6, s[20:21]
	s_waitcnt vmcnt(0)
	v_and_b32_e32 v5, 0xffff, v4
	v_lshlrev_b64 v[4:5], s4, v[5:6]
	s_add_u32 s4, s4, 8
	s_addc_u32 s5, s5, 0
	s_add_u32 s20, s20, 1
	s_addc_u32 s21, s21, 0
	s_cmp_lg_u32 s18, s4
	v_or_b32_e32 v11, v4, v11
	v_or_b32_e32 v12, v5, v12
	s_cbranch_scc1 .LBB3_1158
.LBB3_1159:                             ;   in Loop: Header=BB3_1149 Depth=1
	s_mov_b32 s23, 0
	s_mov_b64 s[4:5], s[6:7]
	s_cbranch_execnz .LBB3_1151
.LBB3_1160:                             ;   in Loop: Header=BB3_1149 Depth=1
	global_load_dwordx2 v[11:12], v6, s[6:7]
	s_add_i32 s23, s16, -8
	s_add_u32 s4, s6, 8
	s_addc_u32 s5, s7, 0
	s_cmp_gt_u32 s23, 7
	s_cbranch_scc0 .LBB3_1152
.LBB3_1161:                             ;   in Loop: Header=BB3_1149 Depth=1
                                        ; implicit-def: $vgpr13_vgpr14
                                        ; implicit-def: $sgpr24
.LBB3_1162:                             ;   in Loop: Header=BB3_1149 Depth=1
	global_load_dwordx2 v[13:14], v6, s[4:5]
	s_add_i32 s24, s23, -8
	s_add_u32 s4, s4, 8
	s_addc_u32 s5, s5, 0
.LBB3_1163:                             ;   in Loop: Header=BB3_1149 Depth=1
	s_cmp_gt_u32 s24, 7
	s_cbranch_scc1 .LBB3_1168
; %bb.1164:                             ;   in Loop: Header=BB3_1149 Depth=1
	v_mov_b32_e32 v15, 0
	v_mov_b32_e32 v16, 0
	s_cmp_eq_u32 s24, 0
	s_cbranch_scc1 .LBB3_1167
; %bb.1165:                             ;   in Loop: Header=BB3_1149 Depth=1
	s_mov_b64 s[18:19], 0
	s_mov_b64 s[20:21], 0
.LBB3_1166:                             ;   Parent Loop BB3_1149 Depth=1
                                        ; =>  This Inner Loop Header: Depth=2
	s_add_u32 vcc_lo, s4, s20
	s_addc_u32 vcc_hi, s5, s21
	s_add_u32 s20, s20, 1
	global_load_ubyte v4, v6, vcc
	s_addc_u32 s21, s21, 0
	s_waitcnt vmcnt(0)
	v_and_b32_e32 v5, 0xffff, v4
	v_lshlrev_b64 v[4:5], s18, v[5:6]
	s_add_u32 s18, s18, 8
	s_addc_u32 s19, s19, 0
	s_cmp_lg_u32 s24, s20
	v_or_b32_e32 v15, v4, v15
	v_or_b32_e32 v16, v5, v16
	s_cbranch_scc1 .LBB3_1166
.LBB3_1167:                             ;   in Loop: Header=BB3_1149 Depth=1
	s_mov_b32 s23, 0
	s_cbranch_execz .LBB3_1169
	s_branch .LBB3_1170
.LBB3_1168:                             ;   in Loop: Header=BB3_1149 Depth=1
                                        ; implicit-def: $sgpr23
.LBB3_1169:                             ;   in Loop: Header=BB3_1149 Depth=1
	global_load_dwordx2 v[15:16], v6, s[4:5]
	s_add_i32 s23, s24, -8
	s_add_u32 s4, s4, 8
	s_addc_u32 s5, s5, 0
.LBB3_1170:                             ;   in Loop: Header=BB3_1149 Depth=1
	s_cmp_gt_u32 s23, 7
	s_cbranch_scc1 .LBB3_1175
; %bb.1171:                             ;   in Loop: Header=BB3_1149 Depth=1
	v_mov_b32_e32 v17, 0
	v_mov_b32_e32 v18, 0
	s_cmp_eq_u32 s23, 0
	s_cbranch_scc1 .LBB3_1174
; %bb.1172:                             ;   in Loop: Header=BB3_1149 Depth=1
	s_mov_b64 s[18:19], 0
	s_mov_b64 s[20:21], 0
.LBB3_1173:                             ;   Parent Loop BB3_1149 Depth=1
                                        ; =>  This Inner Loop Header: Depth=2
	s_add_u32 s24, s4, s20
	s_addc_u32 s25, s5, s21
	s_add_u32 s20, s20, 1
	global_load_ubyte v4, v6, s[24:25]
	s_addc_u32 s21, s21, 0
	s_waitcnt vmcnt(0)
	v_and_b32_e32 v5, 0xffff, v4
	v_lshlrev_b64 v[4:5], s18, v[5:6]
	s_add_u32 s18, s18, 8
	s_addc_u32 s19, s19, 0
	s_cmp_lg_u32 s23, s20
	v_or_b32_e32 v17, v4, v17
	v_or_b32_e32 v18, v5, v18
	s_cbranch_scc1 .LBB3_1173
.LBB3_1174:                             ;   in Loop: Header=BB3_1149 Depth=1
	s_mov_b32 s24, 0
	s_cbranch_execz .LBB3_1176
	s_branch .LBB3_1177
.LBB3_1175:                             ;   in Loop: Header=BB3_1149 Depth=1
                                        ; implicit-def: $vgpr17_vgpr18
                                        ; implicit-def: $sgpr24
.LBB3_1176:                             ;   in Loop: Header=BB3_1149 Depth=1
	global_load_dwordx2 v[17:18], v6, s[4:5]
	s_add_i32 s24, s23, -8
	s_add_u32 s4, s4, 8
	s_addc_u32 s5, s5, 0
.LBB3_1177:                             ;   in Loop: Header=BB3_1149 Depth=1
	s_cmp_gt_u32 s24, 7
	s_cbranch_scc1 .LBB3_1182
; %bb.1178:                             ;   in Loop: Header=BB3_1149 Depth=1
	v_mov_b32_e32 v19, 0
	v_mov_b32_e32 v20, 0
	s_cmp_eq_u32 s24, 0
	s_cbranch_scc1 .LBB3_1181
; %bb.1179:                             ;   in Loop: Header=BB3_1149 Depth=1
	s_mov_b64 s[18:19], 0
	s_mov_b64 s[20:21], 0
.LBB3_1180:                             ;   Parent Loop BB3_1149 Depth=1
                                        ; =>  This Inner Loop Header: Depth=2
	s_add_u32 vcc_lo, s4, s20
	s_addc_u32 vcc_hi, s5, s21
	s_add_u32 s20, s20, 1
	global_load_ubyte v4, v6, vcc
	s_addc_u32 s21, s21, 0
	s_waitcnt vmcnt(0)
	v_and_b32_e32 v5, 0xffff, v4
	v_lshlrev_b64 v[4:5], s18, v[5:6]
	s_add_u32 s18, s18, 8
	s_addc_u32 s19, s19, 0
	s_cmp_lg_u32 s24, s20
	v_or_b32_e32 v19, v4, v19
	v_or_b32_e32 v20, v5, v20
	s_cbranch_scc1 .LBB3_1180
.LBB3_1181:                             ;   in Loop: Header=BB3_1149 Depth=1
	s_mov_b32 s23, 0
	s_cbranch_execz .LBB3_1183
	s_branch .LBB3_1184
.LBB3_1182:                             ;   in Loop: Header=BB3_1149 Depth=1
                                        ; implicit-def: $sgpr23
.LBB3_1183:                             ;   in Loop: Header=BB3_1149 Depth=1
	global_load_dwordx2 v[19:20], v6, s[4:5]
	s_add_i32 s23, s24, -8
	s_add_u32 s4, s4, 8
	s_addc_u32 s5, s5, 0
.LBB3_1184:                             ;   in Loop: Header=BB3_1149 Depth=1
	s_cmp_gt_u32 s23, 7
	s_cbranch_scc1 .LBB3_1189
; %bb.1185:                             ;   in Loop: Header=BB3_1149 Depth=1
	v_mov_b32_e32 v21, 0
	v_mov_b32_e32 v22, 0
	s_cmp_eq_u32 s23, 0
	s_cbranch_scc1 .LBB3_1188
; %bb.1186:                             ;   in Loop: Header=BB3_1149 Depth=1
	s_mov_b64 s[18:19], 0
	s_mov_b64 s[20:21], 0
.LBB3_1187:                             ;   Parent Loop BB3_1149 Depth=1
                                        ; =>  This Inner Loop Header: Depth=2
	s_add_u32 s24, s4, s20
	s_addc_u32 s25, s5, s21
	s_add_u32 s20, s20, 1
	global_load_ubyte v4, v6, s[24:25]
	s_addc_u32 s21, s21, 0
	s_waitcnt vmcnt(0)
	v_and_b32_e32 v5, 0xffff, v4
	v_lshlrev_b64 v[4:5], s18, v[5:6]
	s_add_u32 s18, s18, 8
	s_addc_u32 s19, s19, 0
	s_cmp_lg_u32 s23, s20
	v_or_b32_e32 v21, v4, v21
	v_or_b32_e32 v22, v5, v22
	s_cbranch_scc1 .LBB3_1187
.LBB3_1188:                             ;   in Loop: Header=BB3_1149 Depth=1
	s_mov_b32 s24, 0
	s_cbranch_execz .LBB3_1190
	s_branch .LBB3_1191
.LBB3_1189:                             ;   in Loop: Header=BB3_1149 Depth=1
                                        ; implicit-def: $vgpr21_vgpr22
                                        ; implicit-def: $sgpr24
.LBB3_1190:                             ;   in Loop: Header=BB3_1149 Depth=1
	global_load_dwordx2 v[21:22], v6, s[4:5]
	s_add_i32 s24, s23, -8
	s_add_u32 s4, s4, 8
	s_addc_u32 s5, s5, 0
.LBB3_1191:                             ;   in Loop: Header=BB3_1149 Depth=1
	s_cmp_gt_u32 s24, 7
	s_cbranch_scc1 .LBB3_1196
; %bb.1192:                             ;   in Loop: Header=BB3_1149 Depth=1
	v_mov_b32_e32 v23, 0
	v_mov_b32_e32 v24, 0
	s_cmp_eq_u32 s24, 0
	s_cbranch_scc1 .LBB3_1195
; %bb.1193:                             ;   in Loop: Header=BB3_1149 Depth=1
	s_mov_b64 s[18:19], 0
	s_mov_b64 s[20:21], s[4:5]
.LBB3_1194:                             ;   Parent Loop BB3_1149 Depth=1
                                        ; =>  This Inner Loop Header: Depth=2
	global_load_ubyte v4, v6, s[20:21]
	s_add_i32 s24, s24, -1
	s_waitcnt vmcnt(0)
	v_and_b32_e32 v5, 0xffff, v4
	v_lshlrev_b64 v[4:5], s18, v[5:6]
	s_add_u32 s18, s18, 8
	s_addc_u32 s19, s19, 0
	s_add_u32 s20, s20, 1
	s_addc_u32 s21, s21, 0
	s_cmp_lg_u32 s24, 0
	v_or_b32_e32 v23, v4, v23
	v_or_b32_e32 v24, v5, v24
	s_cbranch_scc1 .LBB3_1194
.LBB3_1195:                             ;   in Loop: Header=BB3_1149 Depth=1
	s_cbranch_execz .LBB3_1197
	s_branch .LBB3_1198
.LBB3_1196:                             ;   in Loop: Header=BB3_1149 Depth=1
.LBB3_1197:                             ;   in Loop: Header=BB3_1149 Depth=1
	global_load_dwordx2 v[23:24], v6, s[4:5]
.LBB3_1198:                             ;   in Loop: Header=BB3_1149 Depth=1
	v_readfirstlane_b32 s4, v39
	s_waitcnt vmcnt(0)
	v_mov_b32_e32 v4, 0
	v_mov_b32_e32 v5, 0
	v_cmp_eq_u32_e64 s4, s4, v39
	s_and_saveexec_b32 s5, s4
	s_cbranch_execz .LBB3_1204
; %bb.1199:                             ;   in Loop: Header=BB3_1149 Depth=1
	global_load_dwordx2 v[27:28], v6, s[26:27] offset:24 glc dlc
	s_waitcnt vmcnt(0)
	buffer_gl1_inv
	buffer_gl0_inv
	s_clause 0x1
	global_load_dwordx2 v[4:5], v6, s[26:27] offset:40
	global_load_dwordx2 v[9:10], v6, s[26:27]
	s_mov_b32 s18, exec_lo
	s_waitcnt vmcnt(1)
	v_and_b32_e32 v5, v5, v28
	v_and_b32_e32 v4, v4, v27
	v_mul_lo_u32 v5, v5, 24
	v_mul_hi_u32 v25, v4, 24
	v_mul_lo_u32 v4, v4, 24
	v_add_nc_u32_e32 v5, v25, v5
	s_waitcnt vmcnt(0)
	v_add_co_u32 v4, vcc_lo, v9, v4
	v_add_co_ci_u32_e32 v5, vcc_lo, v10, v5, vcc_lo
	global_load_dwordx2 v[25:26], v[4:5], off glc dlc
	s_waitcnt vmcnt(0)
	global_atomic_cmpswap_x2 v[4:5], v6, v[25:28], s[26:27] offset:24 glc
	s_waitcnt vmcnt(0)
	buffer_gl1_inv
	buffer_gl0_inv
	v_cmpx_ne_u64_e64 v[4:5], v[27:28]
	s_cbranch_execz .LBB3_1203
; %bb.1200:                             ;   in Loop: Header=BB3_1149 Depth=1
	s_mov_b32 s19, 0
	.p2align	6
.LBB3_1201:                             ;   Parent Loop BB3_1149 Depth=1
                                        ; =>  This Inner Loop Header: Depth=2
	s_sleep 1
	s_clause 0x1
	global_load_dwordx2 v[9:10], v6, s[26:27] offset:40
	global_load_dwordx2 v[25:26], v6, s[26:27]
	v_mov_b32_e32 v28, v5
	v_mov_b32_e32 v27, v4
	s_waitcnt vmcnt(1)
	v_and_b32_e32 v4, v9, v27
	v_and_b32_e32 v9, v10, v28
	s_waitcnt vmcnt(0)
	v_mad_u64_u32 v[4:5], null, v4, 24, v[25:26]
	v_mad_u64_u32 v[9:10], null, v9, 24, v[5:6]
	v_mov_b32_e32 v5, v9
	global_load_dwordx2 v[25:26], v[4:5], off glc dlc
	s_waitcnt vmcnt(0)
	global_atomic_cmpswap_x2 v[4:5], v6, v[25:28], s[26:27] offset:24 glc
	s_waitcnt vmcnt(0)
	buffer_gl1_inv
	buffer_gl0_inv
	v_cmp_eq_u64_e32 vcc_lo, v[4:5], v[27:28]
	s_or_b32 s19, vcc_lo, s19
	s_andn2_b32 exec_lo, exec_lo, s19
	s_cbranch_execnz .LBB3_1201
; %bb.1202:                             ;   in Loop: Header=BB3_1149 Depth=1
	s_or_b32 exec_lo, exec_lo, s19
.LBB3_1203:                             ;   in Loop: Header=BB3_1149 Depth=1
	s_or_b32 exec_lo, exec_lo, s18
.LBB3_1204:                             ;   in Loop: Header=BB3_1149 Depth=1
	s_or_b32 exec_lo, exec_lo, s5
	s_clause 0x1
	global_load_dwordx2 v[9:10], v6, s[26:27] offset:40
	global_load_dwordx4 v[25:28], v6, s[26:27]
	v_readfirstlane_b32 s18, v4
	v_readfirstlane_b32 s19, v5
	s_mov_b32 s5, exec_lo
	s_waitcnt vmcnt(1)
	v_readfirstlane_b32 s20, v9
	v_readfirstlane_b32 s21, v10
	s_and_b64 s[20:21], s[18:19], s[20:21]
	s_mul_i32 s23, s21, 24
	s_mul_hi_u32 s24, s20, 24
	s_mul_i32 s25, s20, 24
	s_add_i32 s24, s24, s23
	s_waitcnt vmcnt(0)
	v_add_co_u32 v29, vcc_lo, v25, s25
	v_add_co_ci_u32_e32 v30, vcc_lo, s24, v26, vcc_lo
	s_and_saveexec_b32 s23, s4
	s_cbranch_execz .LBB3_1206
; %bb.1205:                             ;   in Loop: Header=BB3_1149 Depth=1
	v_mov_b32_e32 v5, s5
	global_store_dwordx4 v[29:30], v[5:8], off offset:8
.LBB3_1206:                             ;   in Loop: Header=BB3_1149 Depth=1
	s_or_b32 exec_lo, exec_lo, s23
	s_lshl_b64 s[20:21], s[20:21], 12
	v_cmp_gt_u64_e64 vcc_lo, s[10:11], 56
	v_or_b32_e32 v5, v2, v31
	v_add_co_u32 v27, s5, v27, s20
	v_add_co_ci_u32_e64 v28, s5, s21, v28, s5
	s_lshl_b32 s5, s16, 2
	v_or_b32_e32 v4, 0, v3
	v_cndmask_b32_e32 v2, v5, v2, vcc_lo
	s_add_i32 s5, s5, 28
	v_readfirstlane_b32 s20, v27
	s_and_b32 s5, s5, 0x1e0
	v_cndmask_b32_e32 v10, v4, v3, vcc_lo
	v_readfirstlane_b32 s21, v28
	v_and_or_b32 v9, 0xffffff1f, v2, s5
	global_store_dwordx4 v38, v[9:12], s[20:21]
	global_store_dwordx4 v38, v[13:16], s[20:21] offset:16
	global_store_dwordx4 v38, v[17:20], s[20:21] offset:32
	;; [unrolled: 1-line block ×3, first 2 shown]
	s_and_saveexec_b32 s5, s4
	s_cbranch_execz .LBB3_1214
; %bb.1207:                             ;   in Loop: Header=BB3_1149 Depth=1
	s_clause 0x1
	global_load_dwordx2 v[13:14], v6, s[26:27] offset:32 glc dlc
	global_load_dwordx2 v[2:3], v6, s[26:27] offset:40
	v_mov_b32_e32 v11, s18
	v_mov_b32_e32 v12, s19
	s_waitcnt vmcnt(0)
	v_readfirstlane_b32 s20, v2
	v_readfirstlane_b32 s21, v3
	s_and_b64 s[20:21], s[20:21], s[18:19]
	s_mul_i32 s21, s21, 24
	s_mul_hi_u32 s23, s20, 24
	s_mul_i32 s20, s20, 24
	s_add_i32 s23, s23, s21
	v_add_co_u32 v9, vcc_lo, v25, s20
	v_add_co_ci_u32_e32 v10, vcc_lo, s23, v26, vcc_lo
	s_mov_b32 s20, exec_lo
	global_store_dwordx2 v[9:10], v[13:14], off
	s_waitcnt_vscnt null, 0x0
	global_atomic_cmpswap_x2 v[4:5], v6, v[11:14], s[26:27] offset:32 glc
	s_waitcnt vmcnt(0)
	v_cmpx_ne_u64_e64 v[4:5], v[13:14]
	s_cbranch_execz .LBB3_1210
; %bb.1208:                             ;   in Loop: Header=BB3_1149 Depth=1
	s_mov_b32 s21, 0
.LBB3_1209:                             ;   Parent Loop BB3_1149 Depth=1
                                        ; =>  This Inner Loop Header: Depth=2
	v_mov_b32_e32 v2, s18
	v_mov_b32_e32 v3, s19
	s_sleep 1
	global_store_dwordx2 v[9:10], v[4:5], off
	s_waitcnt_vscnt null, 0x0
	global_atomic_cmpswap_x2 v[2:3], v6, v[2:5], s[26:27] offset:32 glc
	s_waitcnt vmcnt(0)
	v_cmp_eq_u64_e32 vcc_lo, v[2:3], v[4:5]
	v_mov_b32_e32 v5, v3
	v_mov_b32_e32 v4, v2
	s_or_b32 s21, vcc_lo, s21
	s_andn2_b32 exec_lo, exec_lo, s21
	s_cbranch_execnz .LBB3_1209
.LBB3_1210:                             ;   in Loop: Header=BB3_1149 Depth=1
	s_or_b32 exec_lo, exec_lo, s20
	global_load_dwordx2 v[2:3], v6, s[26:27] offset:16
	s_mov_b32 s21, exec_lo
	s_mov_b32 s20, exec_lo
	v_mbcnt_lo_u32_b32 v4, s21, 0
	v_cmpx_eq_u32_e32 0, v4
	s_cbranch_execz .LBB3_1212
; %bb.1211:                             ;   in Loop: Header=BB3_1149 Depth=1
	s_bcnt1_i32_b32 s21, s21
	v_mov_b32_e32 v5, s21
	s_waitcnt vmcnt(0)
	global_atomic_add_x2 v[2:3], v[5:6], off offset:8
.LBB3_1212:                             ;   in Loop: Header=BB3_1149 Depth=1
	s_or_b32 exec_lo, exec_lo, s20
	s_waitcnt vmcnt(0)
	global_load_dwordx2 v[9:10], v[2:3], off offset:16
	s_waitcnt vmcnt(0)
	v_cmp_eq_u64_e32 vcc_lo, 0, v[9:10]
	s_cbranch_vccnz .LBB3_1214
; %bb.1213:                             ;   in Loop: Header=BB3_1149 Depth=1
	global_load_dword v5, v[2:3], off offset:24
	s_waitcnt vmcnt(0)
	v_and_b32_e32 v2, 0x7fffff, v5
	s_waitcnt_vscnt null, 0x0
	global_store_dwordx2 v[9:10], v[5:6], off
	v_readfirstlane_b32 m0, v2
	s_sendmsg sendmsg(MSG_INTERRUPT)
.LBB3_1214:                             ;   in Loop: Header=BB3_1149 Depth=1
	s_or_b32 exec_lo, exec_lo, s5
	v_add_co_u32 v2, vcc_lo, v27, v38
	v_add_co_ci_u32_e32 v3, vcc_lo, 0, v28, vcc_lo
	s_branch .LBB3_1218
	.p2align	6
.LBB3_1215:                             ;   in Loop: Header=BB3_1218 Depth=2
	s_or_b32 exec_lo, exec_lo, s5
	v_readfirstlane_b32 s5, v4
	s_cmp_eq_u32 s5, 0
	s_cbranch_scc1 .LBB3_1217
; %bb.1216:                             ;   in Loop: Header=BB3_1218 Depth=2
	s_sleep 1
	s_cbranch_execnz .LBB3_1218
	s_branch .LBB3_1220
	.p2align	6
.LBB3_1217:                             ;   in Loop: Header=BB3_1149 Depth=1
	s_branch .LBB3_1220
.LBB3_1218:                             ;   Parent Loop BB3_1149 Depth=1
                                        ; =>  This Inner Loop Header: Depth=2
	v_mov_b32_e32 v4, 1
	s_and_saveexec_b32 s5, s4
	s_cbranch_execz .LBB3_1215
; %bb.1219:                             ;   in Loop: Header=BB3_1218 Depth=2
	global_load_dword v4, v[29:30], off offset:20 glc dlc
	s_waitcnt vmcnt(0)
	buffer_gl1_inv
	buffer_gl0_inv
	v_and_b32_e32 v4, 1, v4
	s_branch .LBB3_1215
.LBB3_1220:                             ;   in Loop: Header=BB3_1149 Depth=1
	global_load_dwordx4 v[2:5], v[2:3], off
	s_and_saveexec_b32 s5, s4
	s_cbranch_execz .LBB3_1148
; %bb.1221:                             ;   in Loop: Header=BB3_1149 Depth=1
	s_clause 0x2
	global_load_dwordx2 v[4:5], v6, s[26:27] offset:40
	global_load_dwordx2 v[13:14], v6, s[26:27] offset:24 glc dlc
	global_load_dwordx2 v[11:12], v6, s[26:27]
	s_waitcnt vmcnt(2)
	v_add_co_u32 v15, vcc_lo, v4, 1
	v_add_co_ci_u32_e32 v16, vcc_lo, 0, v5, vcc_lo
	v_add_co_u32 v9, vcc_lo, v15, s18
	v_add_co_ci_u32_e32 v10, vcc_lo, s19, v16, vcc_lo
	v_cmp_eq_u64_e32 vcc_lo, 0, v[9:10]
	v_cndmask_b32_e32 v10, v10, v16, vcc_lo
	v_cndmask_b32_e32 v9, v9, v15, vcc_lo
	v_and_b32_e32 v5, v10, v5
	v_and_b32_e32 v4, v9, v4
	v_mul_lo_u32 v5, v5, 24
	v_mul_hi_u32 v15, v4, 24
	v_mul_lo_u32 v4, v4, 24
	v_add_nc_u32_e32 v5, v15, v5
	s_waitcnt vmcnt(0)
	v_add_co_u32 v4, vcc_lo, v11, v4
	v_mov_b32_e32 v11, v13
	v_add_co_ci_u32_e32 v5, vcc_lo, v12, v5, vcc_lo
	v_mov_b32_e32 v12, v14
	global_store_dwordx2 v[4:5], v[13:14], off
	s_waitcnt_vscnt null, 0x0
	global_atomic_cmpswap_x2 v[11:12], v6, v[9:12], s[26:27] offset:24 glc
	s_waitcnt vmcnt(0)
	v_cmp_ne_u64_e32 vcc_lo, v[11:12], v[13:14]
	s_and_b32 exec_lo, exec_lo, vcc_lo
	s_cbranch_execz .LBB3_1148
; %bb.1222:                             ;   in Loop: Header=BB3_1149 Depth=1
	s_mov_b32 s4, 0
.LBB3_1223:                             ;   Parent Loop BB3_1149 Depth=1
                                        ; =>  This Inner Loop Header: Depth=2
	s_sleep 1
	global_store_dwordx2 v[4:5], v[11:12], off
	s_waitcnt_vscnt null, 0x0
	global_atomic_cmpswap_x2 v[13:14], v6, v[9:12], s[26:27] offset:24 glc
	s_waitcnt vmcnt(0)
	v_cmp_eq_u64_e32 vcc_lo, v[13:14], v[11:12]
	v_mov_b32_e32 v11, v13
	v_mov_b32_e32 v12, v14
	s_or_b32 s4, vcc_lo, s4
	s_andn2_b32 exec_lo, exec_lo, s4
	s_cbranch_execnz .LBB3_1223
	s_branch .LBB3_1148
.LBB3_1224:
	s_branch .LBB3_1253
.LBB3_1225:
                                        ; implicit-def: $vgpr2_vgpr3
	s_cbranch_execz .LBB3_1253
; %bb.1226:
	v_readfirstlane_b32 s4, v39
	v_mov_b32_e32 v8, 0
	v_mov_b32_e32 v9, 0
	v_cmp_eq_u32_e64 s4, s4, v39
	s_and_saveexec_b32 s5, s4
	s_cbranch_execz .LBB3_1232
; %bb.1227:
	s_waitcnt vmcnt(0)
	v_mov_b32_e32 v2, 0
	s_mov_b32 s6, exec_lo
	global_load_dwordx2 v[5:6], v2, s[26:27] offset:24 glc dlc
	s_waitcnt vmcnt(0)
	buffer_gl1_inv
	buffer_gl0_inv
	s_clause 0x1
	global_load_dwordx2 v[3:4], v2, s[26:27] offset:40
	global_load_dwordx2 v[7:8], v2, s[26:27]
	s_waitcnt vmcnt(1)
	v_and_b32_e32 v4, v4, v6
	v_and_b32_e32 v3, v3, v5
	v_mul_lo_u32 v4, v4, 24
	v_mul_hi_u32 v9, v3, 24
	v_mul_lo_u32 v3, v3, 24
	v_add_nc_u32_e32 v4, v9, v4
	s_waitcnt vmcnt(0)
	v_add_co_u32 v3, vcc_lo, v7, v3
	v_add_co_ci_u32_e32 v4, vcc_lo, v8, v4, vcc_lo
	global_load_dwordx2 v[3:4], v[3:4], off glc dlc
	s_waitcnt vmcnt(0)
	global_atomic_cmpswap_x2 v[8:9], v2, v[3:6], s[26:27] offset:24 glc
	s_waitcnt vmcnt(0)
	buffer_gl1_inv
	buffer_gl0_inv
	v_cmpx_ne_u64_e64 v[8:9], v[5:6]
	s_cbranch_execz .LBB3_1231
; %bb.1228:
	s_mov_b32 s7, 0
	.p2align	6
.LBB3_1229:                             ; =>This Inner Loop Header: Depth=1
	s_sleep 1
	s_clause 0x1
	global_load_dwordx2 v[3:4], v2, s[26:27] offset:40
	global_load_dwordx2 v[10:11], v2, s[26:27]
	v_mov_b32_e32 v5, v8
	v_mov_b32_e32 v6, v9
	s_waitcnt vmcnt(1)
	v_and_b32_e32 v3, v3, v5
	v_and_b32_e32 v4, v4, v6
	s_waitcnt vmcnt(0)
	v_mad_u64_u32 v[7:8], null, v3, 24, v[10:11]
	v_mov_b32_e32 v3, v8
	v_mad_u64_u32 v[3:4], null, v4, 24, v[3:4]
	v_mov_b32_e32 v8, v3
	global_load_dwordx2 v[3:4], v[7:8], off glc dlc
	s_waitcnt vmcnt(0)
	global_atomic_cmpswap_x2 v[8:9], v2, v[3:6], s[26:27] offset:24 glc
	s_waitcnt vmcnt(0)
	buffer_gl1_inv
	buffer_gl0_inv
	v_cmp_eq_u64_e32 vcc_lo, v[8:9], v[5:6]
	s_or_b32 s7, vcc_lo, s7
	s_andn2_b32 exec_lo, exec_lo, s7
	s_cbranch_execnz .LBB3_1229
; %bb.1230:
	s_or_b32 exec_lo, exec_lo, s7
.LBB3_1231:
	s_or_b32 exec_lo, exec_lo, s6
.LBB3_1232:
	s_or_b32 exec_lo, exec_lo, s5
	s_waitcnt vmcnt(0)
	v_mov_b32_e32 v2, 0
	v_readfirstlane_b32 s6, v8
	v_readfirstlane_b32 s7, v9
	s_mov_b32 s5, exec_lo
	s_clause 0x1
	global_load_dwordx2 v[10:11], v2, s[26:27] offset:40
	global_load_dwordx4 v[4:7], v2, s[26:27]
	s_waitcnt vmcnt(1)
	v_readfirstlane_b32 s10, v10
	v_readfirstlane_b32 s11, v11
	s_and_b64 s[10:11], s[6:7], s[10:11]
	s_mul_i32 s16, s11, 24
	s_mul_hi_u32 s17, s10, 24
	s_mul_i32 s18, s10, 24
	s_add_i32 s17, s17, s16
	s_waitcnt vmcnt(0)
	v_add_co_u32 v8, vcc_lo, v4, s18
	v_add_co_ci_u32_e32 v9, vcc_lo, s17, v5, vcc_lo
	s_and_saveexec_b32 s16, s4
	s_cbranch_execz .LBB3_1234
; %bb.1233:
	v_mov_b32_e32 v10, s5
	v_mov_b32_e32 v11, v2
	;; [unrolled: 1-line block ×4, first 2 shown]
	global_store_dwordx4 v[8:9], v[10:13], off offset:8
.LBB3_1234:
	s_or_b32 exec_lo, exec_lo, s16
	s_lshl_b64 s[10:11], s[10:11], 12
	s_mov_b32 s16, 0
	v_add_co_u32 v6, vcc_lo, v6, s10
	v_add_co_ci_u32_e32 v7, vcc_lo, s11, v7, vcc_lo
	s_mov_b32 s17, s16
	v_readfirstlane_b32 s10, v6
	v_add_co_u32 v6, vcc_lo, v6, v38
	s_mov_b32 s18, s16
	s_mov_b32 s19, s16
	v_and_or_b32 v0, 0xffffff1f, v0, 32
	v_mov_b32_e32 v3, v2
	v_readfirstlane_b32 s11, v7
	v_mov_b32_e32 v10, s16
	v_add_co_ci_u32_e32 v7, vcc_lo, 0, v7, vcc_lo
	v_mov_b32_e32 v11, s17
	v_mov_b32_e32 v12, s18
	;; [unrolled: 1-line block ×3, first 2 shown]
	global_store_dwordx4 v38, v[0:3], s[10:11]
	global_store_dwordx4 v38, v[10:13], s[10:11] offset:16
	global_store_dwordx4 v38, v[10:13], s[10:11] offset:32
	;; [unrolled: 1-line block ×3, first 2 shown]
	s_and_saveexec_b32 s5, s4
	s_cbranch_execz .LBB3_1242
; %bb.1235:
	v_mov_b32_e32 v10, 0
	v_mov_b32_e32 v11, s6
	;; [unrolled: 1-line block ×3, first 2 shown]
	s_clause 0x1
	global_load_dwordx2 v[13:14], v10, s[26:27] offset:32 glc dlc
	global_load_dwordx2 v[0:1], v10, s[26:27] offset:40
	s_waitcnt vmcnt(0)
	v_readfirstlane_b32 s10, v0
	v_readfirstlane_b32 s11, v1
	s_and_b64 s[10:11], s[10:11], s[6:7]
	s_mul_i32 s11, s11, 24
	s_mul_hi_u32 s16, s10, 24
	s_mul_i32 s10, s10, 24
	s_add_i32 s16, s16, s11
	v_add_co_u32 v4, vcc_lo, v4, s10
	v_add_co_ci_u32_e32 v5, vcc_lo, s16, v5, vcc_lo
	s_mov_b32 s10, exec_lo
	global_store_dwordx2 v[4:5], v[13:14], off
	s_waitcnt_vscnt null, 0x0
	global_atomic_cmpswap_x2 v[2:3], v10, v[11:14], s[26:27] offset:32 glc
	s_waitcnt vmcnt(0)
	v_cmpx_ne_u64_e64 v[2:3], v[13:14]
	s_cbranch_execz .LBB3_1238
; %bb.1236:
	s_mov_b32 s11, 0
.LBB3_1237:                             ; =>This Inner Loop Header: Depth=1
	v_mov_b32_e32 v0, s6
	v_mov_b32_e32 v1, s7
	s_sleep 1
	global_store_dwordx2 v[4:5], v[2:3], off
	s_waitcnt_vscnt null, 0x0
	global_atomic_cmpswap_x2 v[0:1], v10, v[0:3], s[26:27] offset:32 glc
	s_waitcnt vmcnt(0)
	v_cmp_eq_u64_e32 vcc_lo, v[0:1], v[2:3]
	v_mov_b32_e32 v3, v1
	v_mov_b32_e32 v2, v0
	s_or_b32 s11, vcc_lo, s11
	s_andn2_b32 exec_lo, exec_lo, s11
	s_cbranch_execnz .LBB3_1237
.LBB3_1238:
	s_or_b32 exec_lo, exec_lo, s10
	v_mov_b32_e32 v3, 0
	s_mov_b32 s11, exec_lo
	s_mov_b32 s10, exec_lo
	v_mbcnt_lo_u32_b32 v2, s11, 0
	global_load_dwordx2 v[0:1], v3, s[26:27] offset:16
	v_cmpx_eq_u32_e32 0, v2
	s_cbranch_execz .LBB3_1240
; %bb.1239:
	s_bcnt1_i32_b32 s11, s11
	v_mov_b32_e32 v2, s11
	s_waitcnt vmcnt(0)
	global_atomic_add_x2 v[0:1], v[2:3], off offset:8
.LBB3_1240:
	s_or_b32 exec_lo, exec_lo, s10
	s_waitcnt vmcnt(0)
	global_load_dwordx2 v[2:3], v[0:1], off offset:16
	s_waitcnt vmcnt(0)
	v_cmp_eq_u64_e32 vcc_lo, 0, v[2:3]
	s_cbranch_vccnz .LBB3_1242
; %bb.1241:
	global_load_dword v0, v[0:1], off offset:24
	v_mov_b32_e32 v1, 0
	s_waitcnt vmcnt(0)
	v_and_b32_e32 v4, 0x7fffff, v0
	s_waitcnt_vscnt null, 0x0
	global_store_dwordx2 v[2:3], v[0:1], off
	v_readfirstlane_b32 m0, v4
	s_sendmsg sendmsg(MSG_INTERRUPT)
.LBB3_1242:
	s_or_b32 exec_lo, exec_lo, s5
	s_branch .LBB3_1246
	.p2align	6
.LBB3_1243:                             ;   in Loop: Header=BB3_1246 Depth=1
	s_or_b32 exec_lo, exec_lo, s5
	v_readfirstlane_b32 s5, v0
	s_cmp_eq_u32 s5, 0
	s_cbranch_scc1 .LBB3_1245
; %bb.1244:                             ;   in Loop: Header=BB3_1246 Depth=1
	s_sleep 1
	s_cbranch_execnz .LBB3_1246
	s_branch .LBB3_1248
	.p2align	6
.LBB3_1245:
	s_branch .LBB3_1248
.LBB3_1246:                             ; =>This Inner Loop Header: Depth=1
	v_mov_b32_e32 v0, 1
	s_and_saveexec_b32 s5, s4
	s_cbranch_execz .LBB3_1243
; %bb.1247:                             ;   in Loop: Header=BB3_1246 Depth=1
	global_load_dword v0, v[8:9], off offset:20 glc dlc
	s_waitcnt vmcnt(0)
	buffer_gl1_inv
	buffer_gl0_inv
	v_and_b32_e32 v0, 1, v0
	s_branch .LBB3_1243
.LBB3_1248:
	global_load_dwordx2 v[2:3], v[6:7], off
	s_and_saveexec_b32 s5, s4
	s_cbranch_execz .LBB3_1252
; %bb.1249:
	v_mov_b32_e32 v8, 0
	s_clause 0x2
	global_load_dwordx2 v[0:1], v8, s[26:27] offset:40
	global_load_dwordx2 v[9:10], v8, s[26:27] offset:24 glc dlc
	global_load_dwordx2 v[6:7], v8, s[26:27]
	s_waitcnt vmcnt(2)
	v_add_co_u32 v11, vcc_lo, v0, 1
	v_add_co_ci_u32_e32 v12, vcc_lo, 0, v1, vcc_lo
	v_add_co_u32 v4, vcc_lo, v11, s6
	v_add_co_ci_u32_e32 v5, vcc_lo, s7, v12, vcc_lo
	v_cmp_eq_u64_e32 vcc_lo, 0, v[4:5]
	v_cndmask_b32_e32 v5, v5, v12, vcc_lo
	v_cndmask_b32_e32 v4, v4, v11, vcc_lo
	v_and_b32_e32 v1, v5, v1
	v_and_b32_e32 v0, v4, v0
	v_mul_lo_u32 v1, v1, 24
	v_mul_hi_u32 v11, v0, 24
	v_mul_lo_u32 v0, v0, 24
	v_add_nc_u32_e32 v1, v11, v1
	s_waitcnt vmcnt(0)
	v_add_co_u32 v0, vcc_lo, v6, v0
	v_mov_b32_e32 v6, v9
	v_add_co_ci_u32_e32 v1, vcc_lo, v7, v1, vcc_lo
	v_mov_b32_e32 v7, v10
	global_store_dwordx2 v[0:1], v[9:10], off
	s_waitcnt_vscnt null, 0x0
	global_atomic_cmpswap_x2 v[6:7], v8, v[4:7], s[26:27] offset:24 glc
	s_waitcnt vmcnt(0)
	v_cmp_ne_u64_e32 vcc_lo, v[6:7], v[9:10]
	s_and_b32 exec_lo, exec_lo, vcc_lo
	s_cbranch_execz .LBB3_1252
; %bb.1250:
	s_mov_b32 s4, 0
.LBB3_1251:                             ; =>This Inner Loop Header: Depth=1
	s_sleep 1
	global_store_dwordx2 v[0:1], v[6:7], off
	s_waitcnt_vscnt null, 0x0
	global_atomic_cmpswap_x2 v[9:10], v8, v[4:7], s[26:27] offset:24 glc
	s_waitcnt vmcnt(0)
	v_cmp_eq_u64_e32 vcc_lo, v[9:10], v[6:7]
	v_mov_b32_e32 v6, v9
	v_mov_b32_e32 v7, v10
	s_or_b32 s4, vcc_lo, s4
	s_andn2_b32 exec_lo, exec_lo, s4
	s_cbranch_execnz .LBB3_1251
.LBB3_1252:
	s_or_b32 exec_lo, exec_lo, s5
.LBB3_1253:
	v_readfirstlane_b32 s4, v39
	s_waitcnt vmcnt(0)
	v_mov_b32_e32 v0, 0
	v_mov_b32_e32 v1, 0
	v_cmp_eq_u32_e64 s4, s4, v39
	s_and_saveexec_b32 s5, s4
	s_cbranch_execz .LBB3_1259
; %bb.1254:
	v_mov_b32_e32 v4, 0
	s_mov_b32 s6, exec_lo
	global_load_dwordx2 v[7:8], v4, s[26:27] offset:24 glc dlc
	s_waitcnt vmcnt(0)
	buffer_gl1_inv
	buffer_gl0_inv
	s_clause 0x1
	global_load_dwordx2 v[0:1], v4, s[26:27] offset:40
	global_load_dwordx2 v[5:6], v4, s[26:27]
	s_waitcnt vmcnt(1)
	v_and_b32_e32 v1, v1, v8
	v_and_b32_e32 v0, v0, v7
	v_mul_lo_u32 v1, v1, 24
	v_mul_hi_u32 v9, v0, 24
	v_mul_lo_u32 v0, v0, 24
	v_add_nc_u32_e32 v1, v9, v1
	s_waitcnt vmcnt(0)
	v_add_co_u32 v0, vcc_lo, v5, v0
	v_add_co_ci_u32_e32 v1, vcc_lo, v6, v1, vcc_lo
	global_load_dwordx2 v[5:6], v[0:1], off glc dlc
	s_waitcnt vmcnt(0)
	global_atomic_cmpswap_x2 v[0:1], v4, v[5:8], s[26:27] offset:24 glc
	s_waitcnt vmcnt(0)
	buffer_gl1_inv
	buffer_gl0_inv
	v_cmpx_ne_u64_e64 v[0:1], v[7:8]
	s_cbranch_execz .LBB3_1258
; %bb.1255:
	s_mov_b32 s7, 0
	.p2align	6
.LBB3_1256:                             ; =>This Inner Loop Header: Depth=1
	s_sleep 1
	s_clause 0x1
	global_load_dwordx2 v[5:6], v4, s[26:27] offset:40
	global_load_dwordx2 v[9:10], v4, s[26:27]
	v_mov_b32_e32 v8, v1
	v_mov_b32_e32 v7, v0
	s_waitcnt vmcnt(1)
	v_and_b32_e32 v0, v5, v7
	v_and_b32_e32 v5, v6, v8
	s_waitcnt vmcnt(0)
	v_mad_u64_u32 v[0:1], null, v0, 24, v[9:10]
	v_mad_u64_u32 v[5:6], null, v5, 24, v[1:2]
	v_mov_b32_e32 v1, v5
	global_load_dwordx2 v[5:6], v[0:1], off glc dlc
	s_waitcnt vmcnt(0)
	global_atomic_cmpswap_x2 v[0:1], v4, v[5:8], s[26:27] offset:24 glc
	s_waitcnt vmcnt(0)
	buffer_gl1_inv
	buffer_gl0_inv
	v_cmp_eq_u64_e32 vcc_lo, v[0:1], v[7:8]
	s_or_b32 s7, vcc_lo, s7
	s_andn2_b32 exec_lo, exec_lo, s7
	s_cbranch_execnz .LBB3_1256
; %bb.1257:
	s_or_b32 exec_lo, exec_lo, s7
.LBB3_1258:
	s_or_b32 exec_lo, exec_lo, s6
.LBB3_1259:
	s_or_b32 exec_lo, exec_lo, s5
	v_mov_b32_e32 v5, 0
	v_readfirstlane_b32 s6, v0
	v_readfirstlane_b32 s7, v1
	s_mov_b32 s5, exec_lo
	s_clause 0x1
	global_load_dwordx2 v[10:11], v5, s[26:27] offset:40
	global_load_dwordx4 v[6:9], v5, s[26:27]
	s_waitcnt vmcnt(1)
	v_readfirstlane_b32 s10, v10
	v_readfirstlane_b32 s11, v11
	s_and_b64 s[10:11], s[6:7], s[10:11]
	s_mul_i32 s16, s11, 24
	s_mul_hi_u32 s17, s10, 24
	s_mul_i32 s18, s10, 24
	s_add_i32 s17, s17, s16
	s_waitcnt vmcnt(0)
	v_add_co_u32 v10, vcc_lo, v6, s18
	v_add_co_ci_u32_e32 v11, vcc_lo, s17, v7, vcc_lo
	s_and_saveexec_b32 s16, s4
	s_cbranch_execz .LBB3_1261
; %bb.1260:
	v_mov_b32_e32 v4, s5
	v_mov_b32_e32 v13, v5
	;; [unrolled: 1-line block ×5, first 2 shown]
	global_store_dwordx4 v[10:11], v[12:15], off offset:8
.LBB3_1261:
	s_or_b32 exec_lo, exec_lo, s16
	s_lshl_b64 s[10:11], s[10:11], 12
	s_mov_b32 s16, 0
	v_add_co_u32 v0, vcc_lo, v8, s10
	v_add_co_ci_u32_e32 v1, vcc_lo, s11, v9, vcc_lo
	s_mov_b32 s17, s16
	s_mov_b32 s18, s16
	;; [unrolled: 1-line block ×3, first 2 shown]
	v_and_or_b32 v2, 0xffffff1d, v2, 34
	v_mov_b32_e32 v4, 10
	v_readfirstlane_b32 s10, v0
	v_readfirstlane_b32 s11, v1
	v_mov_b32_e32 v12, s16
	v_mov_b32_e32 v13, s17
	;; [unrolled: 1-line block ×4, first 2 shown]
	global_store_dwordx4 v38, v[2:5], s[10:11]
	global_store_dwordx4 v38, v[12:15], s[10:11] offset:16
	global_store_dwordx4 v38, v[12:15], s[10:11] offset:32
	;; [unrolled: 1-line block ×3, first 2 shown]
	s_and_saveexec_b32 s5, s4
	s_cbranch_execz .LBB3_1269
; %bb.1262:
	v_mov_b32_e32 v8, 0
	v_mov_b32_e32 v12, s6
	;; [unrolled: 1-line block ×3, first 2 shown]
	s_clause 0x1
	global_load_dwordx2 v[14:15], v8, s[26:27] offset:32 glc dlc
	global_load_dwordx2 v[0:1], v8, s[26:27] offset:40
	s_waitcnt vmcnt(0)
	v_readfirstlane_b32 s10, v0
	v_readfirstlane_b32 s11, v1
	s_and_b64 s[10:11], s[10:11], s[6:7]
	s_mul_i32 s11, s11, 24
	s_mul_hi_u32 s16, s10, 24
	s_mul_i32 s10, s10, 24
	s_add_i32 s16, s16, s11
	v_add_co_u32 v4, vcc_lo, v6, s10
	v_add_co_ci_u32_e32 v5, vcc_lo, s16, v7, vcc_lo
	s_mov_b32 s10, exec_lo
	global_store_dwordx2 v[4:5], v[14:15], off
	s_waitcnt_vscnt null, 0x0
	global_atomic_cmpswap_x2 v[2:3], v8, v[12:15], s[26:27] offset:32 glc
	s_waitcnt vmcnt(0)
	v_cmpx_ne_u64_e64 v[2:3], v[14:15]
	s_cbranch_execz .LBB3_1265
; %bb.1263:
	s_mov_b32 s11, 0
.LBB3_1264:                             ; =>This Inner Loop Header: Depth=1
	v_mov_b32_e32 v0, s6
	v_mov_b32_e32 v1, s7
	s_sleep 1
	global_store_dwordx2 v[4:5], v[2:3], off
	s_waitcnt_vscnt null, 0x0
	global_atomic_cmpswap_x2 v[0:1], v8, v[0:3], s[26:27] offset:32 glc
	s_waitcnt vmcnt(0)
	v_cmp_eq_u64_e32 vcc_lo, v[0:1], v[2:3]
	v_mov_b32_e32 v3, v1
	v_mov_b32_e32 v2, v0
	s_or_b32 s11, vcc_lo, s11
	s_andn2_b32 exec_lo, exec_lo, s11
	s_cbranch_execnz .LBB3_1264
.LBB3_1265:
	s_or_b32 exec_lo, exec_lo, s10
	v_mov_b32_e32 v3, 0
	s_mov_b32 s11, exec_lo
	s_mov_b32 s10, exec_lo
	v_mbcnt_lo_u32_b32 v2, s11, 0
	global_load_dwordx2 v[0:1], v3, s[26:27] offset:16
	v_cmpx_eq_u32_e32 0, v2
	s_cbranch_execz .LBB3_1267
; %bb.1266:
	s_bcnt1_i32_b32 s11, s11
	v_mov_b32_e32 v2, s11
	s_waitcnt vmcnt(0)
	global_atomic_add_x2 v[0:1], v[2:3], off offset:8
.LBB3_1267:
	s_or_b32 exec_lo, exec_lo, s10
	s_waitcnt vmcnt(0)
	global_load_dwordx2 v[2:3], v[0:1], off offset:16
	s_waitcnt vmcnt(0)
	v_cmp_eq_u64_e32 vcc_lo, 0, v[2:3]
	s_cbranch_vccnz .LBB3_1269
; %bb.1268:
	global_load_dword v0, v[0:1], off offset:24
	v_mov_b32_e32 v1, 0
	s_waitcnt vmcnt(0)
	v_and_b32_e32 v4, 0x7fffff, v0
	s_waitcnt_vscnt null, 0x0
	global_store_dwordx2 v[2:3], v[0:1], off
	v_readfirstlane_b32 m0, v4
	s_sendmsg sendmsg(MSG_INTERRUPT)
.LBB3_1269:
	s_or_b32 exec_lo, exec_lo, s5
	s_branch .LBB3_1273
	.p2align	6
.LBB3_1270:                             ;   in Loop: Header=BB3_1273 Depth=1
	s_or_b32 exec_lo, exec_lo, s5
	v_readfirstlane_b32 s5, v0
	s_cmp_eq_u32 s5, 0
	s_cbranch_scc1 .LBB3_1272
; %bb.1271:                             ;   in Loop: Header=BB3_1273 Depth=1
	s_sleep 1
	s_cbranch_execnz .LBB3_1273
	s_branch .LBB3_1275
	.p2align	6
.LBB3_1272:
	s_branch .LBB3_1275
.LBB3_1273:                             ; =>This Inner Loop Header: Depth=1
	v_mov_b32_e32 v0, 1
	s_and_saveexec_b32 s5, s4
	s_cbranch_execz .LBB3_1270
; %bb.1274:                             ;   in Loop: Header=BB3_1273 Depth=1
	global_load_dword v0, v[10:11], off offset:20 glc dlc
	s_waitcnt vmcnt(0)
	buffer_gl1_inv
	buffer_gl0_inv
	v_and_b32_e32 v0, 1, v0
	s_branch .LBB3_1270
.LBB3_1275:
	s_and_saveexec_b32 s5, s4
	s_cbranch_execz .LBB3_1279
; %bb.1276:
	v_mov_b32_e32 v6, 0
	s_clause 0x2
	global_load_dwordx2 v[2:3], v6, s[26:27] offset:40
	global_load_dwordx2 v[7:8], v6, s[26:27] offset:24 glc dlc
	global_load_dwordx2 v[4:5], v6, s[26:27]
	s_waitcnt vmcnt(2)
	v_add_co_u32 v9, vcc_lo, v2, 1
	v_add_co_ci_u32_e32 v10, vcc_lo, 0, v3, vcc_lo
	v_add_co_u32 v0, vcc_lo, v9, s6
	v_add_co_ci_u32_e32 v1, vcc_lo, s7, v10, vcc_lo
	v_cmp_eq_u64_e32 vcc_lo, 0, v[0:1]
	v_cndmask_b32_e32 v1, v1, v10, vcc_lo
	v_cndmask_b32_e32 v0, v0, v9, vcc_lo
	v_and_b32_e32 v3, v1, v3
	v_and_b32_e32 v2, v0, v2
	v_mul_lo_u32 v3, v3, 24
	v_mul_hi_u32 v9, v2, 24
	v_mul_lo_u32 v2, v2, 24
	v_add_nc_u32_e32 v3, v9, v3
	s_waitcnt vmcnt(0)
	v_add_co_u32 v4, vcc_lo, v4, v2
	v_mov_b32_e32 v2, v7
	v_add_co_ci_u32_e32 v5, vcc_lo, v5, v3, vcc_lo
	v_mov_b32_e32 v3, v8
	global_store_dwordx2 v[4:5], v[7:8], off
	s_waitcnt_vscnt null, 0x0
	global_atomic_cmpswap_x2 v[2:3], v6, v[0:3], s[26:27] offset:24 glc
	s_waitcnt vmcnt(0)
	v_cmp_ne_u64_e32 vcc_lo, v[2:3], v[7:8]
	s_and_b32 exec_lo, exec_lo, vcc_lo
	s_cbranch_execz .LBB3_1279
; %bb.1277:
	s_mov_b32 s4, 0
.LBB3_1278:                             ; =>This Inner Loop Header: Depth=1
	s_sleep 1
	global_store_dwordx2 v[4:5], v[2:3], off
	s_waitcnt_vscnt null, 0x0
	global_atomic_cmpswap_x2 v[7:8], v6, v[0:3], s[26:27] offset:24 glc
	s_waitcnt vmcnt(0)
	v_cmp_eq_u64_e32 vcc_lo, v[7:8], v[2:3]
	v_mov_b32_e32 v2, v7
	v_mov_b32_e32 v3, v8
	s_or_b32 s4, vcc_lo, s4
	s_andn2_b32 exec_lo, exec_lo, s4
	s_cbranch_execnz .LBB3_1278
.LBB3_1279:
	s_or_b32 exec_lo, exec_lo, s5
	v_readfirstlane_b32 s4, v39
	v_mov_b32_e32 v6, 0
	v_mov_b32_e32 v7, 0
	v_cmp_eq_u32_e64 s4, s4, v39
	s_and_saveexec_b32 s5, s4
	s_cbranch_execz .LBB3_1285
; %bb.1280:
	v_mov_b32_e32 v0, 0
	s_mov_b32 s6, exec_lo
	global_load_dwordx2 v[3:4], v0, s[26:27] offset:24 glc dlc
	s_waitcnt vmcnt(0)
	buffer_gl1_inv
	buffer_gl0_inv
	s_clause 0x1
	global_load_dwordx2 v[1:2], v0, s[26:27] offset:40
	global_load_dwordx2 v[5:6], v0, s[26:27]
	s_waitcnt vmcnt(1)
	v_and_b32_e32 v2, v2, v4
	v_and_b32_e32 v1, v1, v3
	v_mul_lo_u32 v2, v2, 24
	v_mul_hi_u32 v7, v1, 24
	v_mul_lo_u32 v1, v1, 24
	v_add_nc_u32_e32 v2, v7, v2
	s_waitcnt vmcnt(0)
	v_add_co_u32 v1, vcc_lo, v5, v1
	v_add_co_ci_u32_e32 v2, vcc_lo, v6, v2, vcc_lo
	global_load_dwordx2 v[1:2], v[1:2], off glc dlc
	s_waitcnt vmcnt(0)
	global_atomic_cmpswap_x2 v[6:7], v0, v[1:4], s[26:27] offset:24 glc
	s_waitcnt vmcnt(0)
	buffer_gl1_inv
	buffer_gl0_inv
	v_cmpx_ne_u64_e64 v[6:7], v[3:4]
	s_cbranch_execz .LBB3_1284
; %bb.1281:
	s_mov_b32 s7, 0
	.p2align	6
.LBB3_1282:                             ; =>This Inner Loop Header: Depth=1
	s_sleep 1
	s_clause 0x1
	global_load_dwordx2 v[1:2], v0, s[26:27] offset:40
	global_load_dwordx2 v[8:9], v0, s[26:27]
	v_mov_b32_e32 v3, v6
	v_mov_b32_e32 v4, v7
	s_waitcnt vmcnt(1)
	v_and_b32_e32 v1, v1, v3
	v_and_b32_e32 v2, v2, v4
	s_waitcnt vmcnt(0)
	v_mad_u64_u32 v[5:6], null, v1, 24, v[8:9]
	v_mov_b32_e32 v1, v6
	v_mad_u64_u32 v[1:2], null, v2, 24, v[1:2]
	v_mov_b32_e32 v6, v1
	global_load_dwordx2 v[1:2], v[5:6], off glc dlc
	s_waitcnt vmcnt(0)
	global_atomic_cmpswap_x2 v[6:7], v0, v[1:4], s[26:27] offset:24 glc
	s_waitcnt vmcnt(0)
	buffer_gl1_inv
	buffer_gl0_inv
	v_cmp_eq_u64_e32 vcc_lo, v[6:7], v[3:4]
	s_or_b32 s7, vcc_lo, s7
	s_andn2_b32 exec_lo, exec_lo, s7
	s_cbranch_execnz .LBB3_1282
; %bb.1283:
	s_or_b32 exec_lo, exec_lo, s7
.LBB3_1284:
	s_or_b32 exec_lo, exec_lo, s6
.LBB3_1285:
	s_or_b32 exec_lo, exec_lo, s5
	v_mov_b32_e32 v5, 0
	v_readfirstlane_b32 s6, v6
	v_readfirstlane_b32 s7, v7
	s_mov_b32 s5, exec_lo
	s_clause 0x1
	global_load_dwordx2 v[8:9], v5, s[26:27] offset:40
	global_load_dwordx4 v[0:3], v5, s[26:27]
	s_waitcnt vmcnt(1)
	v_readfirstlane_b32 s10, v8
	v_readfirstlane_b32 s11, v9
	s_and_b64 s[10:11], s[6:7], s[10:11]
	s_mul_i32 s16, s11, 24
	s_mul_hi_u32 s17, s10, 24
	s_mul_i32 s18, s10, 24
	s_add_i32 s17, s17, s16
	s_waitcnt vmcnt(0)
	v_add_co_u32 v8, vcc_lo, v0, s18
	v_add_co_ci_u32_e32 v9, vcc_lo, s17, v1, vcc_lo
	s_and_saveexec_b32 s16, s4
	s_cbranch_execz .LBB3_1287
; %bb.1286:
	v_mov_b32_e32 v4, s5
	v_mov_b32_e32 v6, 2
	;; [unrolled: 1-line block ×3, first 2 shown]
	global_store_dwordx4 v[8:9], v[4:7], off offset:8
.LBB3_1287:
	s_or_b32 exec_lo, exec_lo, s16
	s_lshl_b64 s[10:11], s[10:11], 12
	s_mov_b32 s16, 0
	v_add_co_u32 v2, vcc_lo, v2, s10
	v_add_co_ci_u32_e32 v3, vcc_lo, s11, v3, vcc_lo
	s_mov_b32 s17, s16
	v_add_co_u32 v10, vcc_lo, v2, v38
	s_mov_b32 s18, s16
	s_mov_b32 s19, s16
	v_mov_b32_e32 v4, 33
	v_mov_b32_e32 v6, v5
	;; [unrolled: 1-line block ×3, first 2 shown]
	v_readfirstlane_b32 s10, v2
	v_readfirstlane_b32 s11, v3
	v_mov_b32_e32 v12, s16
	v_add_co_ci_u32_e32 v11, vcc_lo, 0, v3, vcc_lo
	v_mov_b32_e32 v13, s17
	v_mov_b32_e32 v14, s18
	v_mov_b32_e32 v15, s19
	global_store_dwordx4 v38, v[4:7], s[10:11]
	global_store_dwordx4 v38, v[12:15], s[10:11] offset:16
	global_store_dwordx4 v38, v[12:15], s[10:11] offset:32
	;; [unrolled: 1-line block ×3, first 2 shown]
	s_and_saveexec_b32 s5, s4
	s_cbranch_execz .LBB3_1295
; %bb.1288:
	v_mov_b32_e32 v6, 0
	v_mov_b32_e32 v12, s6
	;; [unrolled: 1-line block ×3, first 2 shown]
	s_clause 0x1
	global_load_dwordx2 v[14:15], v6, s[26:27] offset:32 glc dlc
	global_load_dwordx2 v[2:3], v6, s[26:27] offset:40
	s_waitcnt vmcnt(0)
	v_readfirstlane_b32 s10, v2
	v_readfirstlane_b32 s11, v3
	s_and_b64 s[10:11], s[10:11], s[6:7]
	s_mul_i32 s11, s11, 24
	s_mul_hi_u32 s16, s10, 24
	s_mul_i32 s10, s10, 24
	s_add_i32 s16, s16, s11
	v_add_co_u32 v4, vcc_lo, v0, s10
	v_add_co_ci_u32_e32 v5, vcc_lo, s16, v1, vcc_lo
	s_mov_b32 s10, exec_lo
	global_store_dwordx2 v[4:5], v[14:15], off
	s_waitcnt_vscnt null, 0x0
	global_atomic_cmpswap_x2 v[2:3], v6, v[12:15], s[26:27] offset:32 glc
	s_waitcnt vmcnt(0)
	v_cmpx_ne_u64_e64 v[2:3], v[14:15]
	s_cbranch_execz .LBB3_1291
; %bb.1289:
	s_mov_b32 s11, 0
.LBB3_1290:                             ; =>This Inner Loop Header: Depth=1
	v_mov_b32_e32 v0, s6
	v_mov_b32_e32 v1, s7
	s_sleep 1
	global_store_dwordx2 v[4:5], v[2:3], off
	s_waitcnt_vscnt null, 0x0
	global_atomic_cmpswap_x2 v[0:1], v6, v[0:3], s[26:27] offset:32 glc
	s_waitcnt vmcnt(0)
	v_cmp_eq_u64_e32 vcc_lo, v[0:1], v[2:3]
	v_mov_b32_e32 v3, v1
	v_mov_b32_e32 v2, v0
	s_or_b32 s11, vcc_lo, s11
	s_andn2_b32 exec_lo, exec_lo, s11
	s_cbranch_execnz .LBB3_1290
.LBB3_1291:
	s_or_b32 exec_lo, exec_lo, s10
	v_mov_b32_e32 v3, 0
	s_mov_b32 s11, exec_lo
	s_mov_b32 s10, exec_lo
	v_mbcnt_lo_u32_b32 v2, s11, 0
	global_load_dwordx2 v[0:1], v3, s[26:27] offset:16
	v_cmpx_eq_u32_e32 0, v2
	s_cbranch_execz .LBB3_1293
; %bb.1292:
	s_bcnt1_i32_b32 s11, s11
	v_mov_b32_e32 v2, s11
	s_waitcnt vmcnt(0)
	global_atomic_add_x2 v[0:1], v[2:3], off offset:8
.LBB3_1293:
	s_or_b32 exec_lo, exec_lo, s10
	s_waitcnt vmcnt(0)
	global_load_dwordx2 v[2:3], v[0:1], off offset:16
	s_waitcnt vmcnt(0)
	v_cmp_eq_u64_e32 vcc_lo, 0, v[2:3]
	s_cbranch_vccnz .LBB3_1295
; %bb.1294:
	global_load_dword v0, v[0:1], off offset:24
	v_mov_b32_e32 v1, 0
	s_waitcnt vmcnt(0)
	v_and_b32_e32 v4, 0x7fffff, v0
	s_waitcnt_vscnt null, 0x0
	global_store_dwordx2 v[2:3], v[0:1], off
	v_readfirstlane_b32 m0, v4
	s_sendmsg sendmsg(MSG_INTERRUPT)
.LBB3_1295:
	s_or_b32 exec_lo, exec_lo, s5
	s_branch .LBB3_1299
	.p2align	6
.LBB3_1296:                             ;   in Loop: Header=BB3_1299 Depth=1
	s_or_b32 exec_lo, exec_lo, s5
	v_readfirstlane_b32 s5, v0
	s_cmp_eq_u32 s5, 0
	s_cbranch_scc1 .LBB3_1298
; %bb.1297:                             ;   in Loop: Header=BB3_1299 Depth=1
	s_sleep 1
	s_cbranch_execnz .LBB3_1299
	s_branch .LBB3_1301
	.p2align	6
.LBB3_1298:
	s_branch .LBB3_1301
.LBB3_1299:                             ; =>This Inner Loop Header: Depth=1
	v_mov_b32_e32 v0, 1
	s_and_saveexec_b32 s5, s4
	s_cbranch_execz .LBB3_1296
; %bb.1300:                             ;   in Loop: Header=BB3_1299 Depth=1
	global_load_dword v0, v[8:9], off offset:20 glc dlc
	s_waitcnt vmcnt(0)
	buffer_gl1_inv
	buffer_gl0_inv
	v_and_b32_e32 v0, 1, v0
	s_branch .LBB3_1296
.LBB3_1301:
	global_load_dwordx2 v[4:5], v[10:11], off
	s_and_saveexec_b32 s5, s4
	s_cbranch_execz .LBB3_1305
; %bb.1302:
	v_mov_b32_e32 v8, 0
	s_clause 0x2
	global_load_dwordx2 v[2:3], v8, s[26:27] offset:40
	global_load_dwordx2 v[9:10], v8, s[26:27] offset:24 glc dlc
	global_load_dwordx2 v[6:7], v8, s[26:27]
	s_waitcnt vmcnt(2)
	v_add_co_u32 v11, vcc_lo, v2, 1
	v_add_co_ci_u32_e32 v12, vcc_lo, 0, v3, vcc_lo
	v_add_co_u32 v0, vcc_lo, v11, s6
	v_add_co_ci_u32_e32 v1, vcc_lo, s7, v12, vcc_lo
	v_cmp_eq_u64_e32 vcc_lo, 0, v[0:1]
	v_cndmask_b32_e32 v1, v1, v12, vcc_lo
	v_cndmask_b32_e32 v0, v0, v11, vcc_lo
	v_and_b32_e32 v3, v1, v3
	v_and_b32_e32 v2, v0, v2
	v_mul_lo_u32 v3, v3, 24
	v_mul_hi_u32 v11, v2, 24
	v_mul_lo_u32 v2, v2, 24
	v_add_nc_u32_e32 v3, v11, v3
	s_waitcnt vmcnt(0)
	v_add_co_u32 v6, vcc_lo, v6, v2
	v_mov_b32_e32 v2, v9
	v_add_co_ci_u32_e32 v7, vcc_lo, v7, v3, vcc_lo
	v_mov_b32_e32 v3, v10
	global_store_dwordx2 v[6:7], v[9:10], off
	s_waitcnt_vscnt null, 0x0
	global_atomic_cmpswap_x2 v[2:3], v8, v[0:3], s[26:27] offset:24 glc
	s_waitcnt vmcnt(0)
	v_cmp_ne_u64_e32 vcc_lo, v[2:3], v[9:10]
	s_and_b32 exec_lo, exec_lo, vcc_lo
	s_cbranch_execz .LBB3_1305
; %bb.1303:
	s_mov_b32 s4, 0
.LBB3_1304:                             ; =>This Inner Loop Header: Depth=1
	s_sleep 1
	global_store_dwordx2 v[6:7], v[2:3], off
	s_waitcnt_vscnt null, 0x0
	global_atomic_cmpswap_x2 v[9:10], v8, v[0:3], s[26:27] offset:24 glc
	s_waitcnt vmcnt(0)
	v_cmp_eq_u64_e32 vcc_lo, v[9:10], v[2:3]
	v_mov_b32_e32 v2, v9
	v_mov_b32_e32 v3, v10
	s_or_b32 s4, vcc_lo, s4
	s_andn2_b32 exec_lo, exec_lo, s4
	s_cbranch_execnz .LBB3_1304
.LBB3_1305:
	s_or_b32 exec_lo, exec_lo, s5
	s_and_b32 vcc_lo, exec_lo, s15
	s_cbranch_vccz .LBB3_1384
; %bb.1306:
	s_waitcnt vmcnt(0)
	v_and_b32_e32 v28, 2, v4
	v_mov_b32_e32 v7, 0
	v_and_b32_e32 v0, -3, v4
	v_mov_b32_e32 v1, v5
	v_mov_b32_e32 v8, 2
	;; [unrolled: 1-line block ×3, first 2 shown]
	s_mov_b64 s[10:11], 3
	s_getpc_b64 s[6:7]
	s_add_u32 s6, s6, .str.5@rel32@lo+4
	s_addc_u32 s7, s7, .str.5@rel32@hi+12
	s_branch .LBB3_1308
.LBB3_1307:                             ;   in Loop: Header=BB3_1308 Depth=1
	s_or_b32 exec_lo, exec_lo, s5
	s_sub_u32 s10, s10, s16
	s_subb_u32 s11, s11, s17
	s_add_u32 s6, s6, s16
	s_addc_u32 s7, s7, s17
	s_cmp_lg_u64 s[10:11], 0
	s_cbranch_scc0 .LBB3_1383
.LBB3_1308:                             ; =>This Loop Header: Depth=1
                                        ;     Child Loop BB3_1317 Depth 2
                                        ;     Child Loop BB3_1313 Depth 2
	;; [unrolled: 1-line block ×11, first 2 shown]
	v_cmp_lt_u64_e64 s4, s[10:11], 56
	v_cmp_gt_u64_e64 s5, s[10:11], 7
                                        ; implicit-def: $vgpr2_vgpr3
                                        ; implicit-def: $sgpr15
	s_and_b32 s4, s4, exec_lo
	s_cselect_b32 s17, s11, 0
	s_cselect_b32 s16, s10, 56
	s_and_b32 vcc_lo, exec_lo, s5
	s_mov_b32 s4, -1
	s_cbranch_vccz .LBB3_1315
; %bb.1309:                             ;   in Loop: Header=BB3_1308 Depth=1
	s_andn2_b32 vcc_lo, exec_lo, s4
	s_mov_b64 s[4:5], s[6:7]
	s_cbranch_vccz .LBB3_1319
.LBB3_1310:                             ;   in Loop: Header=BB3_1308 Depth=1
	s_cmp_gt_u32 s15, 7
	s_cbranch_scc1 .LBB3_1320
.LBB3_1311:                             ;   in Loop: Header=BB3_1308 Depth=1
	v_mov_b32_e32 v10, 0
	v_mov_b32_e32 v11, 0
	s_cmp_eq_u32 s15, 0
	s_cbranch_scc1 .LBB3_1314
; %bb.1312:                             ;   in Loop: Header=BB3_1308 Depth=1
	s_mov_b64 s[18:19], 0
	s_mov_b64 s[20:21], 0
.LBB3_1313:                             ;   Parent Loop BB3_1308 Depth=1
                                        ; =>  This Inner Loop Header: Depth=2
	s_add_u32 s24, s4, s20
	s_addc_u32 s25, s5, s21
	s_add_u32 s20, s20, 1
	global_load_ubyte v6, v7, s[24:25]
	s_addc_u32 s21, s21, 0
	s_waitcnt vmcnt(0)
	v_and_b32_e32 v6, 0xffff, v6
	v_lshlrev_b64 v[12:13], s18, v[6:7]
	s_add_u32 s18, s18, 8
	s_addc_u32 s19, s19, 0
	s_cmp_lg_u32 s15, s20
	v_or_b32_e32 v10, v12, v10
	v_or_b32_e32 v11, v13, v11
	s_cbranch_scc1 .LBB3_1313
.LBB3_1314:                             ;   in Loop: Header=BB3_1308 Depth=1
	s_mov_b32 s23, 0
	s_cbranch_execz .LBB3_1321
	s_branch .LBB3_1322
.LBB3_1315:                             ;   in Loop: Header=BB3_1308 Depth=1
	s_waitcnt vmcnt(0)
	v_mov_b32_e32 v2, 0
	v_mov_b32_e32 v3, 0
	s_cmp_eq_u64 s[10:11], 0
	s_mov_b64 s[4:5], 0
	s_cbranch_scc1 .LBB3_1318
; %bb.1316:                             ;   in Loop: Header=BB3_1308 Depth=1
	v_mov_b32_e32 v2, 0
	v_mov_b32_e32 v3, 0
	s_lshl_b64 s[18:19], s[16:17], 3
	s_mov_b64 s[20:21], s[6:7]
.LBB3_1317:                             ;   Parent Loop BB3_1308 Depth=1
                                        ; =>  This Inner Loop Header: Depth=2
	global_load_ubyte v6, v7, s[20:21]
	s_waitcnt vmcnt(0)
	v_and_b32_e32 v6, 0xffff, v6
	v_lshlrev_b64 v[10:11], s4, v[6:7]
	s_add_u32 s4, s4, 8
	s_addc_u32 s5, s5, 0
	s_add_u32 s20, s20, 1
	s_addc_u32 s21, s21, 0
	s_cmp_lg_u32 s18, s4
	v_or_b32_e32 v2, v10, v2
	v_or_b32_e32 v3, v11, v3
	s_cbranch_scc1 .LBB3_1317
.LBB3_1318:                             ;   in Loop: Header=BB3_1308 Depth=1
	s_mov_b32 s15, 0
	s_mov_b64 s[4:5], s[6:7]
	s_cbranch_execnz .LBB3_1310
.LBB3_1319:                             ;   in Loop: Header=BB3_1308 Depth=1
	global_load_dwordx2 v[2:3], v7, s[6:7]
	s_add_i32 s15, s16, -8
	s_add_u32 s4, s6, 8
	s_addc_u32 s5, s7, 0
	s_cmp_gt_u32 s15, 7
	s_cbranch_scc0 .LBB3_1311
.LBB3_1320:                             ;   in Loop: Header=BB3_1308 Depth=1
                                        ; implicit-def: $vgpr10_vgpr11
                                        ; implicit-def: $sgpr23
.LBB3_1321:                             ;   in Loop: Header=BB3_1308 Depth=1
	global_load_dwordx2 v[10:11], v7, s[4:5]
	s_add_i32 s23, s15, -8
	s_add_u32 s4, s4, 8
	s_addc_u32 s5, s5, 0
.LBB3_1322:                             ;   in Loop: Header=BB3_1308 Depth=1
	s_cmp_gt_u32 s23, 7
	s_cbranch_scc1 .LBB3_1327
; %bb.1323:                             ;   in Loop: Header=BB3_1308 Depth=1
	v_mov_b32_e32 v12, 0
	v_mov_b32_e32 v13, 0
	s_cmp_eq_u32 s23, 0
	s_cbranch_scc1 .LBB3_1326
; %bb.1324:                             ;   in Loop: Header=BB3_1308 Depth=1
	s_mov_b64 s[18:19], 0
	s_mov_b64 s[20:21], 0
.LBB3_1325:                             ;   Parent Loop BB3_1308 Depth=1
                                        ; =>  This Inner Loop Header: Depth=2
	s_add_u32 s24, s4, s20
	s_addc_u32 s25, s5, s21
	s_add_u32 s20, s20, 1
	global_load_ubyte v6, v7, s[24:25]
	s_addc_u32 s21, s21, 0
	s_waitcnt vmcnt(0)
	v_and_b32_e32 v6, 0xffff, v6
	v_lshlrev_b64 v[14:15], s18, v[6:7]
	s_add_u32 s18, s18, 8
	s_addc_u32 s19, s19, 0
	s_cmp_lg_u32 s23, s20
	v_or_b32_e32 v12, v14, v12
	v_or_b32_e32 v13, v15, v13
	s_cbranch_scc1 .LBB3_1325
.LBB3_1326:                             ;   in Loop: Header=BB3_1308 Depth=1
	s_mov_b32 s15, 0
	s_cbranch_execz .LBB3_1328
	s_branch .LBB3_1329
.LBB3_1327:                             ;   in Loop: Header=BB3_1308 Depth=1
                                        ; implicit-def: $sgpr15
.LBB3_1328:                             ;   in Loop: Header=BB3_1308 Depth=1
	global_load_dwordx2 v[12:13], v7, s[4:5]
	s_add_i32 s15, s23, -8
	s_add_u32 s4, s4, 8
	s_addc_u32 s5, s5, 0
.LBB3_1329:                             ;   in Loop: Header=BB3_1308 Depth=1
	s_cmp_gt_u32 s15, 7
	s_cbranch_scc1 .LBB3_1334
; %bb.1330:                             ;   in Loop: Header=BB3_1308 Depth=1
	v_mov_b32_e32 v14, 0
	v_mov_b32_e32 v15, 0
	s_cmp_eq_u32 s15, 0
	s_cbranch_scc1 .LBB3_1333
; %bb.1331:                             ;   in Loop: Header=BB3_1308 Depth=1
	s_mov_b64 s[18:19], 0
	s_mov_b64 s[20:21], 0
.LBB3_1332:                             ;   Parent Loop BB3_1308 Depth=1
                                        ; =>  This Inner Loop Header: Depth=2
	s_add_u32 s24, s4, s20
	s_addc_u32 s25, s5, s21
	s_add_u32 s20, s20, 1
	global_load_ubyte v6, v7, s[24:25]
	s_addc_u32 s21, s21, 0
	s_waitcnt vmcnt(0)
	v_and_b32_e32 v6, 0xffff, v6
	v_lshlrev_b64 v[16:17], s18, v[6:7]
	s_add_u32 s18, s18, 8
	s_addc_u32 s19, s19, 0
	s_cmp_lg_u32 s15, s20
	v_or_b32_e32 v14, v16, v14
	v_or_b32_e32 v15, v17, v15
	s_cbranch_scc1 .LBB3_1332
.LBB3_1333:                             ;   in Loop: Header=BB3_1308 Depth=1
	s_mov_b32 s23, 0
	s_cbranch_execz .LBB3_1335
	s_branch .LBB3_1336
.LBB3_1334:                             ;   in Loop: Header=BB3_1308 Depth=1
                                        ; implicit-def: $vgpr14_vgpr15
                                        ; implicit-def: $sgpr23
.LBB3_1335:                             ;   in Loop: Header=BB3_1308 Depth=1
	global_load_dwordx2 v[14:15], v7, s[4:5]
	s_add_i32 s23, s15, -8
	s_add_u32 s4, s4, 8
	s_addc_u32 s5, s5, 0
.LBB3_1336:                             ;   in Loop: Header=BB3_1308 Depth=1
	s_cmp_gt_u32 s23, 7
	s_cbranch_scc1 .LBB3_1341
; %bb.1337:                             ;   in Loop: Header=BB3_1308 Depth=1
	v_mov_b32_e32 v16, 0
	v_mov_b32_e32 v17, 0
	s_cmp_eq_u32 s23, 0
	s_cbranch_scc1 .LBB3_1340
; %bb.1338:                             ;   in Loop: Header=BB3_1308 Depth=1
	s_mov_b64 s[18:19], 0
	s_mov_b64 s[20:21], 0
.LBB3_1339:                             ;   Parent Loop BB3_1308 Depth=1
                                        ; =>  This Inner Loop Header: Depth=2
	s_add_u32 s24, s4, s20
	s_addc_u32 s25, s5, s21
	s_add_u32 s20, s20, 1
	global_load_ubyte v6, v7, s[24:25]
	s_addc_u32 s21, s21, 0
	s_waitcnt vmcnt(0)
	v_and_b32_e32 v6, 0xffff, v6
	v_lshlrev_b64 v[18:19], s18, v[6:7]
	s_add_u32 s18, s18, 8
	s_addc_u32 s19, s19, 0
	s_cmp_lg_u32 s23, s20
	v_or_b32_e32 v16, v18, v16
	v_or_b32_e32 v17, v19, v17
	s_cbranch_scc1 .LBB3_1339
.LBB3_1340:                             ;   in Loop: Header=BB3_1308 Depth=1
	s_mov_b32 s15, 0
	s_cbranch_execz .LBB3_1342
	s_branch .LBB3_1343
.LBB3_1341:                             ;   in Loop: Header=BB3_1308 Depth=1
                                        ; implicit-def: $sgpr15
.LBB3_1342:                             ;   in Loop: Header=BB3_1308 Depth=1
	global_load_dwordx2 v[16:17], v7, s[4:5]
	s_add_i32 s15, s23, -8
	s_add_u32 s4, s4, 8
	s_addc_u32 s5, s5, 0
.LBB3_1343:                             ;   in Loop: Header=BB3_1308 Depth=1
	s_cmp_gt_u32 s15, 7
	s_cbranch_scc1 .LBB3_1348
; %bb.1344:                             ;   in Loop: Header=BB3_1308 Depth=1
	v_mov_b32_e32 v18, 0
	v_mov_b32_e32 v19, 0
	s_cmp_eq_u32 s15, 0
	s_cbranch_scc1 .LBB3_1347
; %bb.1345:                             ;   in Loop: Header=BB3_1308 Depth=1
	s_mov_b64 s[18:19], 0
	s_mov_b64 s[20:21], 0
.LBB3_1346:                             ;   Parent Loop BB3_1308 Depth=1
                                        ; =>  This Inner Loop Header: Depth=2
	s_add_u32 s24, s4, s20
	s_addc_u32 s25, s5, s21
	s_add_u32 s20, s20, 1
	global_load_ubyte v6, v7, s[24:25]
	s_addc_u32 s21, s21, 0
	s_waitcnt vmcnt(0)
	v_and_b32_e32 v6, 0xffff, v6
	v_lshlrev_b64 v[20:21], s18, v[6:7]
	s_add_u32 s18, s18, 8
	s_addc_u32 s19, s19, 0
	s_cmp_lg_u32 s15, s20
	v_or_b32_e32 v18, v20, v18
	v_or_b32_e32 v19, v21, v19
	s_cbranch_scc1 .LBB3_1346
.LBB3_1347:                             ;   in Loop: Header=BB3_1308 Depth=1
	s_mov_b32 s23, 0
	s_cbranch_execz .LBB3_1349
	s_branch .LBB3_1350
.LBB3_1348:                             ;   in Loop: Header=BB3_1308 Depth=1
                                        ; implicit-def: $vgpr18_vgpr19
                                        ; implicit-def: $sgpr23
.LBB3_1349:                             ;   in Loop: Header=BB3_1308 Depth=1
	global_load_dwordx2 v[18:19], v7, s[4:5]
	s_add_i32 s23, s15, -8
	s_add_u32 s4, s4, 8
	s_addc_u32 s5, s5, 0
.LBB3_1350:                             ;   in Loop: Header=BB3_1308 Depth=1
	s_cmp_gt_u32 s23, 7
	s_cbranch_scc1 .LBB3_1355
; %bb.1351:                             ;   in Loop: Header=BB3_1308 Depth=1
	v_mov_b32_e32 v20, 0
	v_mov_b32_e32 v21, 0
	s_cmp_eq_u32 s23, 0
	s_cbranch_scc1 .LBB3_1354
; %bb.1352:                             ;   in Loop: Header=BB3_1308 Depth=1
	s_mov_b64 s[18:19], 0
	s_mov_b64 s[20:21], s[4:5]
.LBB3_1353:                             ;   Parent Loop BB3_1308 Depth=1
                                        ; =>  This Inner Loop Header: Depth=2
	global_load_ubyte v6, v7, s[20:21]
	s_add_i32 s23, s23, -1
	s_waitcnt vmcnt(0)
	v_and_b32_e32 v6, 0xffff, v6
	v_lshlrev_b64 v[22:23], s18, v[6:7]
	s_add_u32 s18, s18, 8
	s_addc_u32 s19, s19, 0
	s_add_u32 s20, s20, 1
	s_addc_u32 s21, s21, 0
	s_cmp_lg_u32 s23, 0
	v_or_b32_e32 v20, v22, v20
	v_or_b32_e32 v21, v23, v21
	s_cbranch_scc1 .LBB3_1353
.LBB3_1354:                             ;   in Loop: Header=BB3_1308 Depth=1
	s_cbranch_execz .LBB3_1356
	s_branch .LBB3_1357
.LBB3_1355:                             ;   in Loop: Header=BB3_1308 Depth=1
.LBB3_1356:                             ;   in Loop: Header=BB3_1308 Depth=1
	global_load_dwordx2 v[20:21], v7, s[4:5]
.LBB3_1357:                             ;   in Loop: Header=BB3_1308 Depth=1
	v_readfirstlane_b32 s4, v39
	v_mov_b32_e32 v26, 0
	v_mov_b32_e32 v27, 0
	v_cmp_eq_u32_e64 s4, s4, v39
	s_and_saveexec_b32 s5, s4
	s_cbranch_execz .LBB3_1363
; %bb.1358:                             ;   in Loop: Header=BB3_1308 Depth=1
	global_load_dwordx2 v[24:25], v7, s[26:27] offset:24 glc dlc
	s_waitcnt vmcnt(0)
	buffer_gl1_inv
	buffer_gl0_inv
	s_clause 0x1
	global_load_dwordx2 v[22:23], v7, s[26:27] offset:40
	global_load_dwordx2 v[26:27], v7, s[26:27]
	s_mov_b32 s15, exec_lo
	s_waitcnt vmcnt(1)
	v_and_b32_e32 v6, v23, v25
	v_and_b32_e32 v22, v22, v24
	v_mul_lo_u32 v6, v6, 24
	v_mul_hi_u32 v23, v22, 24
	v_mul_lo_u32 v22, v22, 24
	v_add_nc_u32_e32 v6, v23, v6
	s_waitcnt vmcnt(0)
	v_add_co_u32 v22, vcc_lo, v26, v22
	v_add_co_ci_u32_e32 v23, vcc_lo, v27, v6, vcc_lo
	global_load_dwordx2 v[22:23], v[22:23], off glc dlc
	s_waitcnt vmcnt(0)
	global_atomic_cmpswap_x2 v[26:27], v7, v[22:25], s[26:27] offset:24 glc
	s_waitcnt vmcnt(0)
	buffer_gl1_inv
	buffer_gl0_inv
	v_cmpx_ne_u64_e64 v[26:27], v[24:25]
	s_cbranch_execz .LBB3_1362
; %bb.1359:                             ;   in Loop: Header=BB3_1308 Depth=1
	s_mov_b32 s18, 0
	.p2align	6
.LBB3_1360:                             ;   Parent Loop BB3_1308 Depth=1
                                        ; =>  This Inner Loop Header: Depth=2
	s_sleep 1
	s_clause 0x1
	global_load_dwordx2 v[22:23], v7, s[26:27] offset:40
	global_load_dwordx2 v[29:30], v7, s[26:27]
	v_mov_b32_e32 v24, v26
	v_mov_b32_e32 v25, v27
	s_waitcnt vmcnt(1)
	v_and_b32_e32 v6, v22, v24
	v_and_b32_e32 v22, v23, v25
	s_waitcnt vmcnt(0)
	v_mad_u64_u32 v[26:27], null, v6, 24, v[29:30]
	v_mov_b32_e32 v6, v27
	v_mad_u64_u32 v[22:23], null, v22, 24, v[6:7]
	v_mov_b32_e32 v27, v22
	global_load_dwordx2 v[22:23], v[26:27], off glc dlc
	s_waitcnt vmcnt(0)
	global_atomic_cmpswap_x2 v[26:27], v7, v[22:25], s[26:27] offset:24 glc
	s_waitcnt vmcnt(0)
	buffer_gl1_inv
	buffer_gl0_inv
	v_cmp_eq_u64_e32 vcc_lo, v[26:27], v[24:25]
	s_or_b32 s18, vcc_lo, s18
	s_andn2_b32 exec_lo, exec_lo, s18
	s_cbranch_execnz .LBB3_1360
; %bb.1361:                             ;   in Loop: Header=BB3_1308 Depth=1
	s_or_b32 exec_lo, exec_lo, s18
.LBB3_1362:                             ;   in Loop: Header=BB3_1308 Depth=1
	s_or_b32 exec_lo, exec_lo, s15
.LBB3_1363:                             ;   in Loop: Header=BB3_1308 Depth=1
	s_or_b32 exec_lo, exec_lo, s5
	s_clause 0x1
	global_load_dwordx2 v[29:30], v7, s[26:27] offset:40
	global_load_dwordx4 v[22:25], v7, s[26:27]
	v_readfirstlane_b32 s18, v26
	v_readfirstlane_b32 s19, v27
	s_mov_b32 s5, exec_lo
	s_waitcnt vmcnt(1)
	v_readfirstlane_b32 s20, v29
	v_readfirstlane_b32 s21, v30
	s_and_b64 s[20:21], s[18:19], s[20:21]
	s_mul_i32 s15, s21, 24
	s_mul_hi_u32 s23, s20, 24
	s_mul_i32 s24, s20, 24
	s_add_i32 s23, s23, s15
	s_waitcnt vmcnt(0)
	v_add_co_u32 v26, vcc_lo, v22, s24
	v_add_co_ci_u32_e32 v27, vcc_lo, s23, v23, vcc_lo
	s_and_saveexec_b32 s15, s4
	s_cbranch_execz .LBB3_1365
; %bb.1364:                             ;   in Loop: Header=BB3_1308 Depth=1
	v_mov_b32_e32 v6, s5
	global_store_dwordx4 v[26:27], v[6:9], off offset:8
.LBB3_1365:                             ;   in Loop: Header=BB3_1308 Depth=1
	s_or_b32 exec_lo, exec_lo, s15
	s_lshl_b64 s[20:21], s[20:21], 12
	v_cmp_gt_u64_e64 vcc_lo, s[10:11], 56
	v_or_b32_e32 v29, v0, v28
	v_add_co_u32 v24, s5, v24, s20
	v_add_co_ci_u32_e64 v25, s5, s21, v25, s5
	s_lshl_b32 s5, s16, 2
	v_or_b32_e32 v6, 0, v1
	v_cndmask_b32_e32 v0, v29, v0, vcc_lo
	s_add_i32 s5, s5, 28
	v_readfirstlane_b32 s20, v24
	s_and_b32 s5, s5, 0x1e0
	v_cndmask_b32_e32 v1, v6, v1, vcc_lo
	v_readfirstlane_b32 s21, v25
	v_and_or_b32 v0, 0xffffff1f, v0, s5
	global_store_dwordx4 v38, v[0:3], s[20:21]
	global_store_dwordx4 v38, v[10:13], s[20:21] offset:16
	global_store_dwordx4 v38, v[14:17], s[20:21] offset:32
	;; [unrolled: 1-line block ×3, first 2 shown]
	s_and_saveexec_b32 s5, s4
	s_cbranch_execz .LBB3_1373
; %bb.1366:                             ;   in Loop: Header=BB3_1308 Depth=1
	s_clause 0x1
	global_load_dwordx2 v[14:15], v7, s[26:27] offset:32 glc dlc
	global_load_dwordx2 v[0:1], v7, s[26:27] offset:40
	v_mov_b32_e32 v12, s18
	v_mov_b32_e32 v13, s19
	s_waitcnt vmcnt(0)
	v_readfirstlane_b32 s20, v0
	v_readfirstlane_b32 s21, v1
	s_and_b64 s[20:21], s[20:21], s[18:19]
	s_mul_i32 s15, s21, 24
	s_mul_hi_u32 s21, s20, 24
	s_mul_i32 s20, s20, 24
	s_add_i32 s21, s21, s15
	v_add_co_u32 v10, vcc_lo, v22, s20
	v_add_co_ci_u32_e32 v11, vcc_lo, s21, v23, vcc_lo
	s_mov_b32 s15, exec_lo
	global_store_dwordx2 v[10:11], v[14:15], off
	s_waitcnt_vscnt null, 0x0
	global_atomic_cmpswap_x2 v[2:3], v7, v[12:15], s[26:27] offset:32 glc
	s_waitcnt vmcnt(0)
	v_cmpx_ne_u64_e64 v[2:3], v[14:15]
	s_cbranch_execz .LBB3_1369
; %bb.1367:                             ;   in Loop: Header=BB3_1308 Depth=1
	s_mov_b32 s20, 0
.LBB3_1368:                             ;   Parent Loop BB3_1308 Depth=1
                                        ; =>  This Inner Loop Header: Depth=2
	v_mov_b32_e32 v0, s18
	v_mov_b32_e32 v1, s19
	s_sleep 1
	global_store_dwordx2 v[10:11], v[2:3], off
	s_waitcnt_vscnt null, 0x0
	global_atomic_cmpswap_x2 v[0:1], v7, v[0:3], s[26:27] offset:32 glc
	s_waitcnt vmcnt(0)
	v_cmp_eq_u64_e32 vcc_lo, v[0:1], v[2:3]
	v_mov_b32_e32 v3, v1
	v_mov_b32_e32 v2, v0
	s_or_b32 s20, vcc_lo, s20
	s_andn2_b32 exec_lo, exec_lo, s20
	s_cbranch_execnz .LBB3_1368
.LBB3_1369:                             ;   in Loop: Header=BB3_1308 Depth=1
	s_or_b32 exec_lo, exec_lo, s15
	global_load_dwordx2 v[0:1], v7, s[26:27] offset:16
	s_mov_b32 s20, exec_lo
	s_mov_b32 s15, exec_lo
	v_mbcnt_lo_u32_b32 v2, s20, 0
	v_cmpx_eq_u32_e32 0, v2
	s_cbranch_execz .LBB3_1371
; %bb.1370:                             ;   in Loop: Header=BB3_1308 Depth=1
	s_bcnt1_i32_b32 s20, s20
	v_mov_b32_e32 v6, s20
	s_waitcnt vmcnt(0)
	global_atomic_add_x2 v[0:1], v[6:7], off offset:8
.LBB3_1371:                             ;   in Loop: Header=BB3_1308 Depth=1
	s_or_b32 exec_lo, exec_lo, s15
	s_waitcnt vmcnt(0)
	global_load_dwordx2 v[2:3], v[0:1], off offset:16
	s_waitcnt vmcnt(0)
	v_cmp_eq_u64_e32 vcc_lo, 0, v[2:3]
	s_cbranch_vccnz .LBB3_1373
; %bb.1372:                             ;   in Loop: Header=BB3_1308 Depth=1
	global_load_dword v6, v[0:1], off offset:24
	s_waitcnt vmcnt(0)
	v_and_b32_e32 v0, 0x7fffff, v6
	s_waitcnt_vscnt null, 0x0
	global_store_dwordx2 v[2:3], v[6:7], off
	v_readfirstlane_b32 m0, v0
	s_sendmsg sendmsg(MSG_INTERRUPT)
.LBB3_1373:                             ;   in Loop: Header=BB3_1308 Depth=1
	s_or_b32 exec_lo, exec_lo, s5
	v_add_co_u32 v0, vcc_lo, v24, v38
	v_add_co_ci_u32_e32 v1, vcc_lo, 0, v25, vcc_lo
	s_branch .LBB3_1377
	.p2align	6
.LBB3_1374:                             ;   in Loop: Header=BB3_1377 Depth=2
	s_or_b32 exec_lo, exec_lo, s5
	v_readfirstlane_b32 s5, v2
	s_cmp_eq_u32 s5, 0
	s_cbranch_scc1 .LBB3_1376
; %bb.1375:                             ;   in Loop: Header=BB3_1377 Depth=2
	s_sleep 1
	s_cbranch_execnz .LBB3_1377
	s_branch .LBB3_1379
	.p2align	6
.LBB3_1376:                             ;   in Loop: Header=BB3_1308 Depth=1
	s_branch .LBB3_1379
.LBB3_1377:                             ;   Parent Loop BB3_1308 Depth=1
                                        ; =>  This Inner Loop Header: Depth=2
	v_mov_b32_e32 v2, 1
	s_and_saveexec_b32 s5, s4
	s_cbranch_execz .LBB3_1374
; %bb.1378:                             ;   in Loop: Header=BB3_1377 Depth=2
	global_load_dword v2, v[26:27], off offset:20 glc dlc
	s_waitcnt vmcnt(0)
	buffer_gl1_inv
	buffer_gl0_inv
	v_and_b32_e32 v2, 1, v2
	s_branch .LBB3_1374
.LBB3_1379:                             ;   in Loop: Header=BB3_1308 Depth=1
	global_load_dwordx4 v[0:3], v[0:1], off
	s_and_saveexec_b32 s5, s4
	s_cbranch_execz .LBB3_1307
; %bb.1380:                             ;   in Loop: Header=BB3_1308 Depth=1
	s_clause 0x2
	global_load_dwordx2 v[2:3], v7, s[26:27] offset:40
	global_load_dwordx2 v[14:15], v7, s[26:27] offset:24 glc dlc
	global_load_dwordx2 v[12:13], v7, s[26:27]
	s_waitcnt vmcnt(2)
	v_add_co_u32 v6, vcc_lo, v2, 1
	v_add_co_ci_u32_e32 v16, vcc_lo, 0, v3, vcc_lo
	v_add_co_u32 v10, vcc_lo, v6, s18
	v_add_co_ci_u32_e32 v11, vcc_lo, s19, v16, vcc_lo
	v_cmp_eq_u64_e32 vcc_lo, 0, v[10:11]
	v_cndmask_b32_e32 v11, v11, v16, vcc_lo
	v_cndmask_b32_e32 v10, v10, v6, vcc_lo
	v_and_b32_e32 v3, v11, v3
	v_and_b32_e32 v2, v10, v2
	v_mul_lo_u32 v3, v3, 24
	v_mul_hi_u32 v6, v2, 24
	v_mul_lo_u32 v2, v2, 24
	v_add_nc_u32_e32 v3, v6, v3
	s_waitcnt vmcnt(0)
	v_add_co_u32 v2, vcc_lo, v12, v2
	v_mov_b32_e32 v12, v14
	v_add_co_ci_u32_e32 v3, vcc_lo, v13, v3, vcc_lo
	v_mov_b32_e32 v13, v15
	global_store_dwordx2 v[2:3], v[14:15], off
	s_waitcnt_vscnt null, 0x0
	global_atomic_cmpswap_x2 v[12:13], v7, v[10:13], s[26:27] offset:24 glc
	s_waitcnt vmcnt(0)
	v_cmp_ne_u64_e32 vcc_lo, v[12:13], v[14:15]
	s_and_b32 exec_lo, exec_lo, vcc_lo
	s_cbranch_execz .LBB3_1307
; %bb.1381:                             ;   in Loop: Header=BB3_1308 Depth=1
	s_mov_b32 s4, 0
.LBB3_1382:                             ;   Parent Loop BB3_1308 Depth=1
                                        ; =>  This Inner Loop Header: Depth=2
	s_sleep 1
	global_store_dwordx2 v[2:3], v[12:13], off
	s_waitcnt_vscnt null, 0x0
	global_atomic_cmpswap_x2 v[14:15], v7, v[10:13], s[26:27] offset:24 glc
	s_waitcnt vmcnt(0)
	v_cmp_eq_u64_e32 vcc_lo, v[14:15], v[12:13]
	v_mov_b32_e32 v12, v14
	v_mov_b32_e32 v13, v15
	s_or_b32 s4, vcc_lo, s4
	s_andn2_b32 exec_lo, exec_lo, s4
	s_cbranch_execnz .LBB3_1382
	s_branch .LBB3_1307
.LBB3_1383:
	s_branch .LBB3_1412
.LBB3_1384:
                                        ; implicit-def: $vgpr0_vgpr1
	s_cbranch_execz .LBB3_1412
; %bb.1385:
	v_readfirstlane_b32 s4, v39
	v_mov_b32_e32 v7, 0
	v_mov_b32_e32 v8, 0
	v_cmp_eq_u32_e64 s4, s4, v39
	s_and_saveexec_b32 s5, s4
	s_cbranch_execz .LBB3_1391
; %bb.1386:
	s_waitcnt vmcnt(0)
	v_mov_b32_e32 v0, 0
	s_mov_b32 s6, exec_lo
	global_load_dwordx2 v[9:10], v0, s[26:27] offset:24 glc dlc
	s_waitcnt vmcnt(0)
	buffer_gl1_inv
	buffer_gl0_inv
	s_clause 0x1
	global_load_dwordx2 v[1:2], v0, s[26:27] offset:40
	global_load_dwordx2 v[6:7], v0, s[26:27]
	s_waitcnt vmcnt(1)
	v_and_b32_e32 v2, v2, v10
	v_and_b32_e32 v1, v1, v9
	v_mul_lo_u32 v2, v2, 24
	v_mul_hi_u32 v3, v1, 24
	v_mul_lo_u32 v1, v1, 24
	v_add_nc_u32_e32 v2, v3, v2
	s_waitcnt vmcnt(0)
	v_add_co_u32 v1, vcc_lo, v6, v1
	v_add_co_ci_u32_e32 v2, vcc_lo, v7, v2, vcc_lo
	global_load_dwordx2 v[7:8], v[1:2], off glc dlc
	s_waitcnt vmcnt(0)
	global_atomic_cmpswap_x2 v[7:8], v0, v[7:10], s[26:27] offset:24 glc
	s_waitcnt vmcnt(0)
	buffer_gl1_inv
	buffer_gl0_inv
	v_cmpx_ne_u64_e64 v[7:8], v[9:10]
	s_cbranch_execz .LBB3_1390
; %bb.1387:
	s_mov_b32 s7, 0
	.p2align	6
.LBB3_1388:                             ; =>This Inner Loop Header: Depth=1
	s_sleep 1
	s_clause 0x1
	global_load_dwordx2 v[1:2], v0, s[26:27] offset:40
	global_load_dwordx2 v[11:12], v0, s[26:27]
	v_mov_b32_e32 v10, v8
	v_mov_b32_e32 v9, v7
	s_waitcnt vmcnt(1)
	v_and_b32_e32 v1, v1, v9
	v_and_b32_e32 v2, v2, v10
	s_waitcnt vmcnt(0)
	v_mad_u64_u32 v[6:7], null, v1, 24, v[11:12]
	v_mov_b32_e32 v1, v7
	v_mad_u64_u32 v[1:2], null, v2, 24, v[1:2]
	v_mov_b32_e32 v7, v1
	global_load_dwordx2 v[7:8], v[6:7], off glc dlc
	s_waitcnt vmcnt(0)
	global_atomic_cmpswap_x2 v[7:8], v0, v[7:10], s[26:27] offset:24 glc
	s_waitcnt vmcnt(0)
	buffer_gl1_inv
	buffer_gl0_inv
	v_cmp_eq_u64_e32 vcc_lo, v[7:8], v[9:10]
	s_or_b32 s7, vcc_lo, s7
	s_andn2_b32 exec_lo, exec_lo, s7
	s_cbranch_execnz .LBB3_1388
; %bb.1389:
	s_or_b32 exec_lo, exec_lo, s7
.LBB3_1390:
	s_or_b32 exec_lo, exec_lo, s6
.LBB3_1391:
	s_or_b32 exec_lo, exec_lo, s5
	v_mov_b32_e32 v6, 0
	v_readfirstlane_b32 s6, v7
	v_readfirstlane_b32 s7, v8
	s_mov_b32 s5, exec_lo
	s_clause 0x1
	global_load_dwordx2 v[9:10], v6, s[26:27] offset:40
	global_load_dwordx4 v[0:3], v6, s[26:27]
	s_waitcnt vmcnt(1)
	v_readfirstlane_b32 s10, v9
	v_readfirstlane_b32 s11, v10
	s_and_b64 s[10:11], s[6:7], s[10:11]
	s_mul_i32 s15, s11, 24
	s_mul_hi_u32 s16, s10, 24
	s_mul_i32 s17, s10, 24
	s_add_i32 s16, s16, s15
	s_waitcnt vmcnt(0)
	v_add_co_u32 v8, vcc_lo, v0, s17
	v_add_co_ci_u32_e32 v9, vcc_lo, s16, v1, vcc_lo
	s_and_saveexec_b32 s15, s4
	s_cbranch_execz .LBB3_1393
; %bb.1392:
	v_mov_b32_e32 v10, s5
	v_mov_b32_e32 v11, v6
	;; [unrolled: 1-line block ×4, first 2 shown]
	global_store_dwordx4 v[8:9], v[10:13], off offset:8
.LBB3_1393:
	s_or_b32 exec_lo, exec_lo, s15
	s_lshl_b64 s[10:11], s[10:11], 12
	s_mov_b32 s16, 0
	v_add_co_u32 v2, vcc_lo, v2, s10
	v_add_co_ci_u32_e32 v3, vcc_lo, s11, v3, vcc_lo
	s_mov_b32 s17, s16
	v_add_co_u32 v10, vcc_lo, v2, v38
	s_mov_b32 s18, s16
	s_mov_b32 s19, s16
	v_and_or_b32 v4, 0xffffff1f, v4, 32
	v_mov_b32_e32 v7, v6
	v_readfirstlane_b32 s10, v2
	v_readfirstlane_b32 s11, v3
	v_mov_b32_e32 v12, s16
	v_add_co_ci_u32_e32 v11, vcc_lo, 0, v3, vcc_lo
	v_mov_b32_e32 v13, s17
	v_mov_b32_e32 v14, s18
	;; [unrolled: 1-line block ×3, first 2 shown]
	global_store_dwordx4 v38, v[4:7], s[10:11]
	global_store_dwordx4 v38, v[12:15], s[10:11] offset:16
	global_store_dwordx4 v38, v[12:15], s[10:11] offset:32
	;; [unrolled: 1-line block ×3, first 2 shown]
	s_and_saveexec_b32 s5, s4
	s_cbranch_execz .LBB3_1401
; %bb.1394:
	v_mov_b32_e32 v6, 0
	v_mov_b32_e32 v12, s6
	;; [unrolled: 1-line block ×3, first 2 shown]
	s_clause 0x1
	global_load_dwordx2 v[14:15], v6, s[26:27] offset:32 glc dlc
	global_load_dwordx2 v[2:3], v6, s[26:27] offset:40
	s_waitcnt vmcnt(0)
	v_readfirstlane_b32 s10, v2
	v_readfirstlane_b32 s11, v3
	s_and_b64 s[10:11], s[10:11], s[6:7]
	s_mul_i32 s11, s11, 24
	s_mul_hi_u32 s15, s10, 24
	s_mul_i32 s10, s10, 24
	s_add_i32 s15, s15, s11
	v_add_co_u32 v4, vcc_lo, v0, s10
	v_add_co_ci_u32_e32 v5, vcc_lo, s15, v1, vcc_lo
	s_mov_b32 s10, exec_lo
	global_store_dwordx2 v[4:5], v[14:15], off
	s_waitcnt_vscnt null, 0x0
	global_atomic_cmpswap_x2 v[2:3], v6, v[12:15], s[26:27] offset:32 glc
	s_waitcnt vmcnt(0)
	v_cmpx_ne_u64_e64 v[2:3], v[14:15]
	s_cbranch_execz .LBB3_1397
; %bb.1395:
	s_mov_b32 s11, 0
.LBB3_1396:                             ; =>This Inner Loop Header: Depth=1
	v_mov_b32_e32 v0, s6
	v_mov_b32_e32 v1, s7
	s_sleep 1
	global_store_dwordx2 v[4:5], v[2:3], off
	s_waitcnt_vscnt null, 0x0
	global_atomic_cmpswap_x2 v[0:1], v6, v[0:3], s[26:27] offset:32 glc
	s_waitcnt vmcnt(0)
	v_cmp_eq_u64_e32 vcc_lo, v[0:1], v[2:3]
	v_mov_b32_e32 v3, v1
	v_mov_b32_e32 v2, v0
	s_or_b32 s11, vcc_lo, s11
	s_andn2_b32 exec_lo, exec_lo, s11
	s_cbranch_execnz .LBB3_1396
.LBB3_1397:
	s_or_b32 exec_lo, exec_lo, s10
	v_mov_b32_e32 v3, 0
	s_mov_b32 s11, exec_lo
	s_mov_b32 s10, exec_lo
	v_mbcnt_lo_u32_b32 v2, s11, 0
	global_load_dwordx2 v[0:1], v3, s[26:27] offset:16
	v_cmpx_eq_u32_e32 0, v2
	s_cbranch_execz .LBB3_1399
; %bb.1398:
	s_bcnt1_i32_b32 s11, s11
	v_mov_b32_e32 v2, s11
	s_waitcnt vmcnt(0)
	global_atomic_add_x2 v[0:1], v[2:3], off offset:8
.LBB3_1399:
	s_or_b32 exec_lo, exec_lo, s10
	s_waitcnt vmcnt(0)
	global_load_dwordx2 v[2:3], v[0:1], off offset:16
	s_waitcnt vmcnt(0)
	v_cmp_eq_u64_e32 vcc_lo, 0, v[2:3]
	s_cbranch_vccnz .LBB3_1401
; %bb.1400:
	global_load_dword v0, v[0:1], off offset:24
	v_mov_b32_e32 v1, 0
	s_waitcnt vmcnt(0)
	v_and_b32_e32 v4, 0x7fffff, v0
	s_waitcnt_vscnt null, 0x0
	global_store_dwordx2 v[2:3], v[0:1], off
	v_readfirstlane_b32 m0, v4
	s_sendmsg sendmsg(MSG_INTERRUPT)
.LBB3_1401:
	s_or_b32 exec_lo, exec_lo, s5
	s_branch .LBB3_1405
	.p2align	6
.LBB3_1402:                             ;   in Loop: Header=BB3_1405 Depth=1
	s_or_b32 exec_lo, exec_lo, s5
	v_readfirstlane_b32 s5, v0
	s_cmp_eq_u32 s5, 0
	s_cbranch_scc1 .LBB3_1404
; %bb.1403:                             ;   in Loop: Header=BB3_1405 Depth=1
	s_sleep 1
	s_cbranch_execnz .LBB3_1405
	s_branch .LBB3_1407
	.p2align	6
.LBB3_1404:
	s_branch .LBB3_1407
.LBB3_1405:                             ; =>This Inner Loop Header: Depth=1
	v_mov_b32_e32 v0, 1
	s_and_saveexec_b32 s5, s4
	s_cbranch_execz .LBB3_1402
; %bb.1406:                             ;   in Loop: Header=BB3_1405 Depth=1
	global_load_dword v0, v[8:9], off offset:20 glc dlc
	s_waitcnt vmcnt(0)
	buffer_gl1_inv
	buffer_gl0_inv
	v_and_b32_e32 v0, 1, v0
	s_branch .LBB3_1402
.LBB3_1407:
	global_load_dwordx2 v[0:1], v[10:11], off
	s_and_saveexec_b32 s5, s4
	s_cbranch_execz .LBB3_1411
; %bb.1408:
	v_mov_b32_e32 v8, 0
	s_clause 0x2
	global_load_dwordx2 v[4:5], v8, s[26:27] offset:40
	global_load_dwordx2 v[9:10], v8, s[26:27] offset:24 glc dlc
	global_load_dwordx2 v[6:7], v8, s[26:27]
	s_waitcnt vmcnt(2)
	v_add_co_u32 v11, vcc_lo, v4, 1
	v_add_co_ci_u32_e32 v12, vcc_lo, 0, v5, vcc_lo
	v_add_co_u32 v2, vcc_lo, v11, s6
	v_add_co_ci_u32_e32 v3, vcc_lo, s7, v12, vcc_lo
	v_cmp_eq_u64_e32 vcc_lo, 0, v[2:3]
	v_cndmask_b32_e32 v3, v3, v12, vcc_lo
	v_cndmask_b32_e32 v2, v2, v11, vcc_lo
	v_and_b32_e32 v5, v3, v5
	v_and_b32_e32 v4, v2, v4
	v_mul_lo_u32 v5, v5, 24
	v_mul_hi_u32 v11, v4, 24
	v_mul_lo_u32 v4, v4, 24
	v_add_nc_u32_e32 v5, v11, v5
	s_waitcnt vmcnt(0)
	v_add_co_u32 v6, vcc_lo, v6, v4
	v_mov_b32_e32 v4, v9
	v_add_co_ci_u32_e32 v7, vcc_lo, v7, v5, vcc_lo
	v_mov_b32_e32 v5, v10
	global_store_dwordx2 v[6:7], v[9:10], off
	s_waitcnt_vscnt null, 0x0
	global_atomic_cmpswap_x2 v[4:5], v8, v[2:5], s[26:27] offset:24 glc
	s_waitcnt vmcnt(0)
	v_cmp_ne_u64_e32 vcc_lo, v[4:5], v[9:10]
	s_and_b32 exec_lo, exec_lo, vcc_lo
	s_cbranch_execz .LBB3_1411
; %bb.1409:
	s_mov_b32 s4, 0
.LBB3_1410:                             ; =>This Inner Loop Header: Depth=1
	s_sleep 1
	global_store_dwordx2 v[6:7], v[4:5], off
	s_waitcnt_vscnt null, 0x0
	global_atomic_cmpswap_x2 v[9:10], v8, v[2:5], s[26:27] offset:24 glc
	s_waitcnt vmcnt(0)
	v_cmp_eq_u64_e32 vcc_lo, v[9:10], v[4:5]
	v_mov_b32_e32 v4, v9
	v_mov_b32_e32 v5, v10
	s_or_b32 s4, vcc_lo, s4
	s_andn2_b32 exec_lo, exec_lo, s4
	s_cbranch_execnz .LBB3_1410
.LBB3_1411:
	s_or_b32 exec_lo, exec_lo, s5
.LBB3_1412:
	s_getpc_b64 s[6:7]
	s_add_u32 s6, s6, .str.2@rel32@lo+4
	s_addc_u32 s7, s7, .str.2@rel32@hi+12
	s_cmp_lg_u64 s[6:7], 0
	s_cbranch_scc0 .LBB3_1491
; %bb.1413:
	s_waitcnt vmcnt(0)
	v_and_b32_e32 v6, -3, v0
	v_mov_b32_e32 v7, v1
	v_mov_b32_e32 v3, 0
	;; [unrolled: 1-line block ×4, first 2 shown]
	s_mov_b64 s[10:11], 13
	s_branch .LBB3_1415
.LBB3_1414:                             ;   in Loop: Header=BB3_1415 Depth=1
	s_or_b32 exec_lo, exec_lo, s5
	s_sub_u32 s10, s10, s16
	s_subb_u32 s11, s11, s17
	s_add_u32 s6, s6, s16
	s_addc_u32 s7, s7, s17
	s_cmp_lg_u64 s[10:11], 0
	s_cbranch_scc0 .LBB3_1490
.LBB3_1415:                             ; =>This Loop Header: Depth=1
                                        ;     Child Loop BB3_1424 Depth 2
                                        ;     Child Loop BB3_1420 Depth 2
                                        ;     Child Loop BB3_1432 Depth 2
                                        ;     Child Loop BB3_1439 Depth 2
                                        ;     Child Loop BB3_1446 Depth 2
                                        ;     Child Loop BB3_1453 Depth 2
                                        ;     Child Loop BB3_1460 Depth 2
                                        ;     Child Loop BB3_1467 Depth 2
                                        ;     Child Loop BB3_1475 Depth 2
                                        ;     Child Loop BB3_1484 Depth 2
                                        ;     Child Loop BB3_1489 Depth 2
	v_cmp_lt_u64_e64 s4, s[10:11], 56
	v_cmp_gt_u64_e64 s5, s[10:11], 7
                                        ; implicit-def: $sgpr15
	s_and_b32 s4, s4, exec_lo
	s_cselect_b32 s17, s11, 0
	s_cselect_b32 s16, s10, 56
	s_and_b32 vcc_lo, exec_lo, s5
	s_mov_b32 s4, -1
	s_cbranch_vccz .LBB3_1422
; %bb.1416:                             ;   in Loop: Header=BB3_1415 Depth=1
	s_andn2_b32 vcc_lo, exec_lo, s4
	s_mov_b64 s[4:5], s[6:7]
	s_cbranch_vccz .LBB3_1426
.LBB3_1417:                             ;   in Loop: Header=BB3_1415 Depth=1
	s_cmp_gt_u32 s15, 7
	s_cbranch_scc1 .LBB3_1427
.LBB3_1418:                             ;   in Loop: Header=BB3_1415 Depth=1
	v_mov_b32_e32 v10, 0
	v_mov_b32_e32 v11, 0
	s_cmp_eq_u32 s15, 0
	s_cbranch_scc1 .LBB3_1421
; %bb.1419:                             ;   in Loop: Header=BB3_1415 Depth=1
	s_mov_b64 s[18:19], 0
	s_mov_b64 s[20:21], 0
.LBB3_1420:                             ;   Parent Loop BB3_1415 Depth=1
                                        ; =>  This Inner Loop Header: Depth=2
	s_add_u32 s24, s4, s20
	s_addc_u32 s25, s5, s21
	s_add_u32 s20, s20, 1
	global_load_ubyte v2, v3, s[24:25]
	s_addc_u32 s21, s21, 0
	s_waitcnt vmcnt(0)
	v_and_b32_e32 v2, 0xffff, v2
	v_lshlrev_b64 v[12:13], s18, v[2:3]
	s_add_u32 s18, s18, 8
	s_addc_u32 s19, s19, 0
	s_cmp_lg_u32 s15, s20
	v_or_b32_e32 v10, v12, v10
	v_or_b32_e32 v11, v13, v11
	s_cbranch_scc1 .LBB3_1420
.LBB3_1421:                             ;   in Loop: Header=BB3_1415 Depth=1
	s_mov_b32 s23, 0
	s_cbranch_execz .LBB3_1428
	s_branch .LBB3_1429
.LBB3_1422:                             ;   in Loop: Header=BB3_1415 Depth=1
	s_waitcnt vmcnt(0)
	v_mov_b32_e32 v8, 0
	v_mov_b32_e32 v9, 0
	s_cmp_eq_u64 s[10:11], 0
	s_mov_b64 s[4:5], 0
	s_cbranch_scc1 .LBB3_1425
; %bb.1423:                             ;   in Loop: Header=BB3_1415 Depth=1
	v_mov_b32_e32 v8, 0
	v_mov_b32_e32 v9, 0
	s_lshl_b64 s[18:19], s[16:17], 3
	s_mov_b64 s[20:21], s[6:7]
.LBB3_1424:                             ;   Parent Loop BB3_1415 Depth=1
                                        ; =>  This Inner Loop Header: Depth=2
	global_load_ubyte v2, v3, s[20:21]
	s_waitcnt vmcnt(0)
	v_and_b32_e32 v2, 0xffff, v2
	v_lshlrev_b64 v[10:11], s4, v[2:3]
	s_add_u32 s4, s4, 8
	s_addc_u32 s5, s5, 0
	s_add_u32 s20, s20, 1
	s_addc_u32 s21, s21, 0
	s_cmp_lg_u32 s18, s4
	v_or_b32_e32 v8, v10, v8
	v_or_b32_e32 v9, v11, v9
	s_cbranch_scc1 .LBB3_1424
.LBB3_1425:                             ;   in Loop: Header=BB3_1415 Depth=1
	s_mov_b32 s15, 0
	s_mov_b64 s[4:5], s[6:7]
	s_cbranch_execnz .LBB3_1417
.LBB3_1426:                             ;   in Loop: Header=BB3_1415 Depth=1
	global_load_dwordx2 v[8:9], v3, s[6:7]
	s_add_i32 s15, s16, -8
	s_add_u32 s4, s6, 8
	s_addc_u32 s5, s7, 0
	s_cmp_gt_u32 s15, 7
	s_cbranch_scc0 .LBB3_1418
.LBB3_1427:                             ;   in Loop: Header=BB3_1415 Depth=1
                                        ; implicit-def: $vgpr10_vgpr11
                                        ; implicit-def: $sgpr23
.LBB3_1428:                             ;   in Loop: Header=BB3_1415 Depth=1
	global_load_dwordx2 v[10:11], v3, s[4:5]
	s_add_i32 s23, s15, -8
	s_add_u32 s4, s4, 8
	s_addc_u32 s5, s5, 0
.LBB3_1429:                             ;   in Loop: Header=BB3_1415 Depth=1
	s_cmp_gt_u32 s23, 7
	s_cbranch_scc1 .LBB3_1434
; %bb.1430:                             ;   in Loop: Header=BB3_1415 Depth=1
	v_mov_b32_e32 v12, 0
	v_mov_b32_e32 v13, 0
	s_cmp_eq_u32 s23, 0
	s_cbranch_scc1 .LBB3_1433
; %bb.1431:                             ;   in Loop: Header=BB3_1415 Depth=1
	s_mov_b64 s[18:19], 0
	s_mov_b64 s[20:21], 0
.LBB3_1432:                             ;   Parent Loop BB3_1415 Depth=1
                                        ; =>  This Inner Loop Header: Depth=2
	s_add_u32 s24, s4, s20
	s_addc_u32 s25, s5, s21
	s_add_u32 s20, s20, 1
	global_load_ubyte v2, v3, s[24:25]
	s_addc_u32 s21, s21, 0
	s_waitcnt vmcnt(0)
	v_and_b32_e32 v2, 0xffff, v2
	v_lshlrev_b64 v[14:15], s18, v[2:3]
	s_add_u32 s18, s18, 8
	s_addc_u32 s19, s19, 0
	s_cmp_lg_u32 s23, s20
	v_or_b32_e32 v12, v14, v12
	v_or_b32_e32 v13, v15, v13
	s_cbranch_scc1 .LBB3_1432
.LBB3_1433:                             ;   in Loop: Header=BB3_1415 Depth=1
	s_mov_b32 s15, 0
	s_cbranch_execz .LBB3_1435
	s_branch .LBB3_1436
.LBB3_1434:                             ;   in Loop: Header=BB3_1415 Depth=1
                                        ; implicit-def: $sgpr15
.LBB3_1435:                             ;   in Loop: Header=BB3_1415 Depth=1
	global_load_dwordx2 v[12:13], v3, s[4:5]
	s_add_i32 s15, s23, -8
	s_add_u32 s4, s4, 8
	s_addc_u32 s5, s5, 0
.LBB3_1436:                             ;   in Loop: Header=BB3_1415 Depth=1
	s_cmp_gt_u32 s15, 7
	s_cbranch_scc1 .LBB3_1441
; %bb.1437:                             ;   in Loop: Header=BB3_1415 Depth=1
	v_mov_b32_e32 v14, 0
	v_mov_b32_e32 v15, 0
	s_cmp_eq_u32 s15, 0
	s_cbranch_scc1 .LBB3_1440
; %bb.1438:                             ;   in Loop: Header=BB3_1415 Depth=1
	s_mov_b64 s[18:19], 0
	s_mov_b64 s[20:21], 0
.LBB3_1439:                             ;   Parent Loop BB3_1415 Depth=1
                                        ; =>  This Inner Loop Header: Depth=2
	s_add_u32 s24, s4, s20
	s_addc_u32 s25, s5, s21
	s_add_u32 s20, s20, 1
	global_load_ubyte v2, v3, s[24:25]
	s_addc_u32 s21, s21, 0
	s_waitcnt vmcnt(0)
	v_and_b32_e32 v2, 0xffff, v2
	v_lshlrev_b64 v[16:17], s18, v[2:3]
	s_add_u32 s18, s18, 8
	s_addc_u32 s19, s19, 0
	s_cmp_lg_u32 s15, s20
	v_or_b32_e32 v14, v16, v14
	v_or_b32_e32 v15, v17, v15
	s_cbranch_scc1 .LBB3_1439
.LBB3_1440:                             ;   in Loop: Header=BB3_1415 Depth=1
	s_mov_b32 s23, 0
	s_cbranch_execz .LBB3_1442
	s_branch .LBB3_1443
.LBB3_1441:                             ;   in Loop: Header=BB3_1415 Depth=1
                                        ; implicit-def: $vgpr14_vgpr15
                                        ; implicit-def: $sgpr23
.LBB3_1442:                             ;   in Loop: Header=BB3_1415 Depth=1
	global_load_dwordx2 v[14:15], v3, s[4:5]
	s_add_i32 s23, s15, -8
	s_add_u32 s4, s4, 8
	s_addc_u32 s5, s5, 0
.LBB3_1443:                             ;   in Loop: Header=BB3_1415 Depth=1
	s_cmp_gt_u32 s23, 7
	s_cbranch_scc1 .LBB3_1448
; %bb.1444:                             ;   in Loop: Header=BB3_1415 Depth=1
	v_mov_b32_e32 v16, 0
	v_mov_b32_e32 v17, 0
	s_cmp_eq_u32 s23, 0
	s_cbranch_scc1 .LBB3_1447
; %bb.1445:                             ;   in Loop: Header=BB3_1415 Depth=1
	s_mov_b64 s[18:19], 0
	s_mov_b64 s[20:21], 0
.LBB3_1446:                             ;   Parent Loop BB3_1415 Depth=1
                                        ; =>  This Inner Loop Header: Depth=2
	s_add_u32 s24, s4, s20
	s_addc_u32 s25, s5, s21
	s_add_u32 s20, s20, 1
	global_load_ubyte v2, v3, s[24:25]
	s_addc_u32 s21, s21, 0
	s_waitcnt vmcnt(0)
	v_and_b32_e32 v2, 0xffff, v2
	v_lshlrev_b64 v[18:19], s18, v[2:3]
	s_add_u32 s18, s18, 8
	s_addc_u32 s19, s19, 0
	s_cmp_lg_u32 s23, s20
	v_or_b32_e32 v16, v18, v16
	v_or_b32_e32 v17, v19, v17
	s_cbranch_scc1 .LBB3_1446
.LBB3_1447:                             ;   in Loop: Header=BB3_1415 Depth=1
	s_mov_b32 s15, 0
	s_cbranch_execz .LBB3_1449
	s_branch .LBB3_1450
.LBB3_1448:                             ;   in Loop: Header=BB3_1415 Depth=1
                                        ; implicit-def: $sgpr15
.LBB3_1449:                             ;   in Loop: Header=BB3_1415 Depth=1
	global_load_dwordx2 v[16:17], v3, s[4:5]
	s_add_i32 s15, s23, -8
	s_add_u32 s4, s4, 8
	s_addc_u32 s5, s5, 0
.LBB3_1450:                             ;   in Loop: Header=BB3_1415 Depth=1
	s_cmp_gt_u32 s15, 7
	s_cbranch_scc1 .LBB3_1455
; %bb.1451:                             ;   in Loop: Header=BB3_1415 Depth=1
	v_mov_b32_e32 v18, 0
	v_mov_b32_e32 v19, 0
	s_cmp_eq_u32 s15, 0
	s_cbranch_scc1 .LBB3_1454
; %bb.1452:                             ;   in Loop: Header=BB3_1415 Depth=1
	s_mov_b64 s[18:19], 0
	s_mov_b64 s[20:21], 0
.LBB3_1453:                             ;   Parent Loop BB3_1415 Depth=1
                                        ; =>  This Inner Loop Header: Depth=2
	s_add_u32 s24, s4, s20
	s_addc_u32 s25, s5, s21
	s_add_u32 s20, s20, 1
	global_load_ubyte v2, v3, s[24:25]
	s_addc_u32 s21, s21, 0
	s_waitcnt vmcnt(0)
	v_and_b32_e32 v2, 0xffff, v2
	v_lshlrev_b64 v[20:21], s18, v[2:3]
	s_add_u32 s18, s18, 8
	s_addc_u32 s19, s19, 0
	s_cmp_lg_u32 s15, s20
	v_or_b32_e32 v18, v20, v18
	v_or_b32_e32 v19, v21, v19
	s_cbranch_scc1 .LBB3_1453
.LBB3_1454:                             ;   in Loop: Header=BB3_1415 Depth=1
	s_mov_b32 s23, 0
	s_cbranch_execz .LBB3_1456
	s_branch .LBB3_1457
.LBB3_1455:                             ;   in Loop: Header=BB3_1415 Depth=1
                                        ; implicit-def: $vgpr18_vgpr19
                                        ; implicit-def: $sgpr23
.LBB3_1456:                             ;   in Loop: Header=BB3_1415 Depth=1
	global_load_dwordx2 v[18:19], v3, s[4:5]
	s_add_i32 s23, s15, -8
	s_add_u32 s4, s4, 8
	s_addc_u32 s5, s5, 0
.LBB3_1457:                             ;   in Loop: Header=BB3_1415 Depth=1
	s_cmp_gt_u32 s23, 7
	s_cbranch_scc1 .LBB3_1462
; %bb.1458:                             ;   in Loop: Header=BB3_1415 Depth=1
	v_mov_b32_e32 v20, 0
	v_mov_b32_e32 v21, 0
	s_cmp_eq_u32 s23, 0
	s_cbranch_scc1 .LBB3_1461
; %bb.1459:                             ;   in Loop: Header=BB3_1415 Depth=1
	s_mov_b64 s[18:19], 0
	s_mov_b64 s[20:21], s[4:5]
.LBB3_1460:                             ;   Parent Loop BB3_1415 Depth=1
                                        ; =>  This Inner Loop Header: Depth=2
	global_load_ubyte v2, v3, s[20:21]
	s_add_i32 s23, s23, -1
	s_waitcnt vmcnt(0)
	v_and_b32_e32 v2, 0xffff, v2
	v_lshlrev_b64 v[22:23], s18, v[2:3]
	s_add_u32 s18, s18, 8
	s_addc_u32 s19, s19, 0
	s_add_u32 s20, s20, 1
	s_addc_u32 s21, s21, 0
	s_cmp_lg_u32 s23, 0
	v_or_b32_e32 v20, v22, v20
	v_or_b32_e32 v21, v23, v21
	s_cbranch_scc1 .LBB3_1460
.LBB3_1461:                             ;   in Loop: Header=BB3_1415 Depth=1
	s_cbranch_execz .LBB3_1463
	s_branch .LBB3_1464
.LBB3_1462:                             ;   in Loop: Header=BB3_1415 Depth=1
.LBB3_1463:                             ;   in Loop: Header=BB3_1415 Depth=1
	global_load_dwordx2 v[20:21], v3, s[4:5]
.LBB3_1464:                             ;   in Loop: Header=BB3_1415 Depth=1
	v_readfirstlane_b32 s4, v39
	v_mov_b32_e32 v26, 0
	v_mov_b32_e32 v27, 0
	v_cmp_eq_u32_e64 s4, s4, v39
	s_and_saveexec_b32 s5, s4
	s_cbranch_execz .LBB3_1470
; %bb.1465:                             ;   in Loop: Header=BB3_1415 Depth=1
	global_load_dwordx2 v[24:25], v3, s[26:27] offset:24 glc dlc
	s_waitcnt vmcnt(0)
	buffer_gl1_inv
	buffer_gl0_inv
	s_clause 0x1
	global_load_dwordx2 v[22:23], v3, s[26:27] offset:40
	global_load_dwordx2 v[26:27], v3, s[26:27]
	s_mov_b32 s15, exec_lo
	s_waitcnt vmcnt(1)
	v_and_b32_e32 v2, v23, v25
	v_and_b32_e32 v22, v22, v24
	v_mul_lo_u32 v2, v2, 24
	v_mul_hi_u32 v23, v22, 24
	v_mul_lo_u32 v22, v22, 24
	v_add_nc_u32_e32 v2, v23, v2
	s_waitcnt vmcnt(0)
	v_add_co_u32 v22, vcc_lo, v26, v22
	v_add_co_ci_u32_e32 v23, vcc_lo, v27, v2, vcc_lo
	global_load_dwordx2 v[22:23], v[22:23], off glc dlc
	s_waitcnt vmcnt(0)
	global_atomic_cmpswap_x2 v[26:27], v3, v[22:25], s[26:27] offset:24 glc
	s_waitcnt vmcnt(0)
	buffer_gl1_inv
	buffer_gl0_inv
	v_cmpx_ne_u64_e64 v[26:27], v[24:25]
	s_cbranch_execz .LBB3_1469
; %bb.1466:                             ;   in Loop: Header=BB3_1415 Depth=1
	s_mov_b32 s18, 0
	.p2align	6
.LBB3_1467:                             ;   Parent Loop BB3_1415 Depth=1
                                        ; =>  This Inner Loop Header: Depth=2
	s_sleep 1
	s_clause 0x1
	global_load_dwordx2 v[22:23], v3, s[26:27] offset:40
	global_load_dwordx2 v[28:29], v3, s[26:27]
	v_mov_b32_e32 v24, v26
	v_mov_b32_e32 v25, v27
	s_waitcnt vmcnt(1)
	v_and_b32_e32 v2, v22, v24
	v_and_b32_e32 v22, v23, v25
	s_waitcnt vmcnt(0)
	v_mad_u64_u32 v[26:27], null, v2, 24, v[28:29]
	v_mov_b32_e32 v2, v27
	v_mad_u64_u32 v[22:23], null, v22, 24, v[2:3]
	v_mov_b32_e32 v27, v22
	global_load_dwordx2 v[22:23], v[26:27], off glc dlc
	s_waitcnt vmcnt(0)
	global_atomic_cmpswap_x2 v[26:27], v3, v[22:25], s[26:27] offset:24 glc
	s_waitcnt vmcnt(0)
	buffer_gl1_inv
	buffer_gl0_inv
	v_cmp_eq_u64_e32 vcc_lo, v[26:27], v[24:25]
	s_or_b32 s18, vcc_lo, s18
	s_andn2_b32 exec_lo, exec_lo, s18
	s_cbranch_execnz .LBB3_1467
; %bb.1468:                             ;   in Loop: Header=BB3_1415 Depth=1
	s_or_b32 exec_lo, exec_lo, s18
.LBB3_1469:                             ;   in Loop: Header=BB3_1415 Depth=1
	s_or_b32 exec_lo, exec_lo, s15
.LBB3_1470:                             ;   in Loop: Header=BB3_1415 Depth=1
	s_or_b32 exec_lo, exec_lo, s5
	s_clause 0x1
	global_load_dwordx2 v[28:29], v3, s[26:27] offset:40
	global_load_dwordx4 v[22:25], v3, s[26:27]
	v_readfirstlane_b32 s18, v26
	v_readfirstlane_b32 s19, v27
	s_mov_b32 s5, exec_lo
	s_waitcnt vmcnt(1)
	v_readfirstlane_b32 s20, v28
	v_readfirstlane_b32 s21, v29
	s_and_b64 s[20:21], s[18:19], s[20:21]
	s_mul_i32 s15, s21, 24
	s_mul_hi_u32 s23, s20, 24
	s_mul_i32 s24, s20, 24
	s_add_i32 s23, s23, s15
	s_waitcnt vmcnt(0)
	v_add_co_u32 v26, vcc_lo, v22, s24
	v_add_co_ci_u32_e32 v27, vcc_lo, s23, v23, vcc_lo
	s_and_saveexec_b32 s15, s4
	s_cbranch_execz .LBB3_1472
; %bb.1471:                             ;   in Loop: Header=BB3_1415 Depth=1
	v_mov_b32_e32 v2, s5
	global_store_dwordx4 v[26:27], v[2:5], off offset:8
.LBB3_1472:                             ;   in Loop: Header=BB3_1415 Depth=1
	s_or_b32 exec_lo, exec_lo, s15
	s_lshl_b64 s[20:21], s[20:21], 12
	v_or_b32_e32 v2, 2, v6
	v_add_co_u32 v24, vcc_lo, v24, s20
	v_add_co_ci_u32_e32 v25, vcc_lo, s21, v25, vcc_lo
	v_cmp_gt_u64_e64 vcc_lo, s[10:11], 56
	s_lshl_b32 s5, s16, 2
	v_readfirstlane_b32 s20, v24
	s_add_i32 s5, s5, 28
	v_readfirstlane_b32 s21, v25
	s_and_b32 s5, s5, 0x1e0
	v_cndmask_b32_e32 v2, v2, v6, vcc_lo
	v_and_or_b32 v6, 0xffffff1f, v2, s5
	global_store_dwordx4 v38, v[10:13], s[20:21] offset:16
	global_store_dwordx4 v38, v[6:9], s[20:21]
	global_store_dwordx4 v38, v[14:17], s[20:21] offset:32
	global_store_dwordx4 v38, v[18:21], s[20:21] offset:48
	s_and_saveexec_b32 s5, s4
	s_cbranch_execz .LBB3_1480
; %bb.1473:                             ;   in Loop: Header=BB3_1415 Depth=1
	s_clause 0x1
	global_load_dwordx2 v[14:15], v3, s[26:27] offset:32 glc dlc
	global_load_dwordx2 v[6:7], v3, s[26:27] offset:40
	v_mov_b32_e32 v12, s18
	v_mov_b32_e32 v13, s19
	s_waitcnt vmcnt(0)
	v_readfirstlane_b32 s20, v6
	v_readfirstlane_b32 s21, v7
	s_and_b64 s[20:21], s[20:21], s[18:19]
	s_mul_i32 s15, s21, 24
	s_mul_hi_u32 s21, s20, 24
	s_mul_i32 s20, s20, 24
	s_add_i32 s21, s21, s15
	v_add_co_u32 v10, vcc_lo, v22, s20
	v_add_co_ci_u32_e32 v11, vcc_lo, s21, v23, vcc_lo
	s_mov_b32 s15, exec_lo
	global_store_dwordx2 v[10:11], v[14:15], off
	s_waitcnt_vscnt null, 0x0
	global_atomic_cmpswap_x2 v[8:9], v3, v[12:15], s[26:27] offset:32 glc
	s_waitcnt vmcnt(0)
	v_cmpx_ne_u64_e64 v[8:9], v[14:15]
	s_cbranch_execz .LBB3_1476
; %bb.1474:                             ;   in Loop: Header=BB3_1415 Depth=1
	s_mov_b32 s20, 0
.LBB3_1475:                             ;   Parent Loop BB3_1415 Depth=1
                                        ; =>  This Inner Loop Header: Depth=2
	v_mov_b32_e32 v6, s18
	v_mov_b32_e32 v7, s19
	s_sleep 1
	global_store_dwordx2 v[10:11], v[8:9], off
	s_waitcnt_vscnt null, 0x0
	global_atomic_cmpswap_x2 v[6:7], v3, v[6:9], s[26:27] offset:32 glc
	s_waitcnt vmcnt(0)
	v_cmp_eq_u64_e32 vcc_lo, v[6:7], v[8:9]
	v_mov_b32_e32 v9, v7
	v_mov_b32_e32 v8, v6
	s_or_b32 s20, vcc_lo, s20
	s_andn2_b32 exec_lo, exec_lo, s20
	s_cbranch_execnz .LBB3_1475
.LBB3_1476:                             ;   in Loop: Header=BB3_1415 Depth=1
	s_or_b32 exec_lo, exec_lo, s15
	global_load_dwordx2 v[6:7], v3, s[26:27] offset:16
	s_mov_b32 s20, exec_lo
	s_mov_b32 s15, exec_lo
	v_mbcnt_lo_u32_b32 v2, s20, 0
	v_cmpx_eq_u32_e32 0, v2
	s_cbranch_execz .LBB3_1478
; %bb.1477:                             ;   in Loop: Header=BB3_1415 Depth=1
	s_bcnt1_i32_b32 s20, s20
	v_mov_b32_e32 v2, s20
	s_waitcnt vmcnt(0)
	global_atomic_add_x2 v[6:7], v[2:3], off offset:8
.LBB3_1478:                             ;   in Loop: Header=BB3_1415 Depth=1
	s_or_b32 exec_lo, exec_lo, s15
	s_waitcnt vmcnt(0)
	global_load_dwordx2 v[8:9], v[6:7], off offset:16
	s_waitcnt vmcnt(0)
	v_cmp_eq_u64_e32 vcc_lo, 0, v[8:9]
	s_cbranch_vccnz .LBB3_1480
; %bb.1479:                             ;   in Loop: Header=BB3_1415 Depth=1
	global_load_dword v2, v[6:7], off offset:24
	s_waitcnt vmcnt(0)
	v_and_b32_e32 v6, 0x7fffff, v2
	s_waitcnt_vscnt null, 0x0
	global_store_dwordx2 v[8:9], v[2:3], off
	v_readfirstlane_b32 m0, v6
	s_sendmsg sendmsg(MSG_INTERRUPT)
.LBB3_1480:                             ;   in Loop: Header=BB3_1415 Depth=1
	s_or_b32 exec_lo, exec_lo, s5
	v_add_co_u32 v6, vcc_lo, v24, v38
	v_add_co_ci_u32_e32 v7, vcc_lo, 0, v25, vcc_lo
	s_branch .LBB3_1484
	.p2align	6
.LBB3_1481:                             ;   in Loop: Header=BB3_1484 Depth=2
	s_or_b32 exec_lo, exec_lo, s5
	v_readfirstlane_b32 s5, v2
	s_cmp_eq_u32 s5, 0
	s_cbranch_scc1 .LBB3_1483
; %bb.1482:                             ;   in Loop: Header=BB3_1484 Depth=2
	s_sleep 1
	s_cbranch_execnz .LBB3_1484
	s_branch .LBB3_1486
	.p2align	6
.LBB3_1483:                             ;   in Loop: Header=BB3_1415 Depth=1
	s_branch .LBB3_1486
.LBB3_1484:                             ;   Parent Loop BB3_1415 Depth=1
                                        ; =>  This Inner Loop Header: Depth=2
	v_mov_b32_e32 v2, 1
	s_and_saveexec_b32 s5, s4
	s_cbranch_execz .LBB3_1481
; %bb.1485:                             ;   in Loop: Header=BB3_1484 Depth=2
	global_load_dword v2, v[26:27], off offset:20 glc dlc
	s_waitcnt vmcnt(0)
	buffer_gl1_inv
	buffer_gl0_inv
	v_and_b32_e32 v2, 1, v2
	s_branch .LBB3_1481
.LBB3_1486:                             ;   in Loop: Header=BB3_1415 Depth=1
	global_load_dwordx4 v[6:9], v[6:7], off
	s_and_saveexec_b32 s5, s4
	s_cbranch_execz .LBB3_1414
; %bb.1487:                             ;   in Loop: Header=BB3_1415 Depth=1
	s_clause 0x2
	global_load_dwordx2 v[10:11], v3, s[26:27] offset:40
	global_load_dwordx2 v[14:15], v3, s[26:27] offset:24 glc dlc
	global_load_dwordx2 v[12:13], v3, s[26:27]
	s_waitcnt vmcnt(2)
	v_add_co_u32 v2, vcc_lo, v10, 1
	v_add_co_ci_u32_e32 v16, vcc_lo, 0, v11, vcc_lo
	v_add_co_u32 v8, vcc_lo, v2, s18
	v_add_co_ci_u32_e32 v9, vcc_lo, s19, v16, vcc_lo
	v_cmp_eq_u64_e32 vcc_lo, 0, v[8:9]
	v_cndmask_b32_e32 v9, v9, v16, vcc_lo
	v_cndmask_b32_e32 v8, v8, v2, vcc_lo
	v_and_b32_e32 v2, v9, v11
	v_and_b32_e32 v10, v8, v10
	v_mul_lo_u32 v2, v2, 24
	v_mul_hi_u32 v11, v10, 24
	v_mul_lo_u32 v10, v10, 24
	v_add_nc_u32_e32 v2, v11, v2
	s_waitcnt vmcnt(0)
	v_add_co_u32 v12, vcc_lo, v12, v10
	v_mov_b32_e32 v10, v14
	v_mov_b32_e32 v11, v15
	v_add_co_ci_u32_e32 v13, vcc_lo, v13, v2, vcc_lo
	global_store_dwordx2 v[12:13], v[14:15], off
	s_waitcnt_vscnt null, 0x0
	global_atomic_cmpswap_x2 v[10:11], v3, v[8:11], s[26:27] offset:24 glc
	s_waitcnt vmcnt(0)
	v_cmp_ne_u64_e32 vcc_lo, v[10:11], v[14:15]
	s_and_b32 exec_lo, exec_lo, vcc_lo
	s_cbranch_execz .LBB3_1414
; %bb.1488:                             ;   in Loop: Header=BB3_1415 Depth=1
	s_mov_b32 s4, 0
.LBB3_1489:                             ;   Parent Loop BB3_1415 Depth=1
                                        ; =>  This Inner Loop Header: Depth=2
	s_sleep 1
	global_store_dwordx2 v[12:13], v[10:11], off
	s_waitcnt_vscnt null, 0x0
	global_atomic_cmpswap_x2 v[14:15], v3, v[8:11], s[26:27] offset:24 glc
	s_waitcnt vmcnt(0)
	v_cmp_eq_u64_e32 vcc_lo, v[14:15], v[10:11]
	v_mov_b32_e32 v10, v14
	v_mov_b32_e32 v11, v15
	s_or_b32 s4, vcc_lo, s4
	s_andn2_b32 exec_lo, exec_lo, s4
	s_cbranch_execnz .LBB3_1489
	s_branch .LBB3_1414
.LBB3_1490:
	s_mov_b32 s4, 0
	s_branch .LBB3_1492
.LBB3_1491:
	s_mov_b32 s4, -1
.LBB3_1492:
	s_mov_b32 s35, s12
	s_mov_b32 s36, s13
	;; [unrolled: 1-line block ×3, first 2 shown]
	s_and_b32 vcc_lo, exec_lo, s4
	s_cbranch_vccz .LBB3_1520
; %bb.1493:
	v_readfirstlane_b32 s4, v39
	s_waitcnt vmcnt(0)
	v_mov_b32_e32 v8, 0
	v_mov_b32_e32 v9, 0
	v_cmp_eq_u32_e64 s4, s4, v39
	s_and_saveexec_b32 s5, s4
	s_cbranch_execz .LBB3_1499
; %bb.1494:
	v_mov_b32_e32 v2, 0
	s_mov_b32 s6, exec_lo
	global_load_dwordx2 v[5:6], v2, s[26:27] offset:24 glc dlc
	s_waitcnt vmcnt(0)
	buffer_gl1_inv
	buffer_gl0_inv
	s_clause 0x1
	global_load_dwordx2 v[3:4], v2, s[26:27] offset:40
	global_load_dwordx2 v[7:8], v2, s[26:27]
	s_waitcnt vmcnt(1)
	v_and_b32_e32 v4, v4, v6
	v_and_b32_e32 v3, v3, v5
	v_mul_lo_u32 v4, v4, 24
	v_mul_hi_u32 v9, v3, 24
	v_mul_lo_u32 v3, v3, 24
	v_add_nc_u32_e32 v4, v9, v4
	s_waitcnt vmcnt(0)
	v_add_co_u32 v3, vcc_lo, v7, v3
	v_add_co_ci_u32_e32 v4, vcc_lo, v8, v4, vcc_lo
	global_load_dwordx2 v[3:4], v[3:4], off glc dlc
	s_waitcnt vmcnt(0)
	global_atomic_cmpswap_x2 v[8:9], v2, v[3:6], s[26:27] offset:24 glc
	s_waitcnt vmcnt(0)
	buffer_gl1_inv
	buffer_gl0_inv
	v_cmpx_ne_u64_e64 v[8:9], v[5:6]
	s_cbranch_execz .LBB3_1498
; %bb.1495:
	s_mov_b32 s7, 0
	.p2align	6
.LBB3_1496:                             ; =>This Inner Loop Header: Depth=1
	s_sleep 1
	s_clause 0x1
	global_load_dwordx2 v[3:4], v2, s[26:27] offset:40
	global_load_dwordx2 v[10:11], v2, s[26:27]
	v_mov_b32_e32 v5, v8
	v_mov_b32_e32 v6, v9
	s_waitcnt vmcnt(1)
	v_and_b32_e32 v3, v3, v5
	v_and_b32_e32 v4, v4, v6
	s_waitcnt vmcnt(0)
	v_mad_u64_u32 v[7:8], null, v3, 24, v[10:11]
	v_mov_b32_e32 v3, v8
	v_mad_u64_u32 v[3:4], null, v4, 24, v[3:4]
	v_mov_b32_e32 v8, v3
	global_load_dwordx2 v[3:4], v[7:8], off glc dlc
	s_waitcnt vmcnt(0)
	global_atomic_cmpswap_x2 v[8:9], v2, v[3:6], s[26:27] offset:24 glc
	s_waitcnt vmcnt(0)
	buffer_gl1_inv
	buffer_gl0_inv
	v_cmp_eq_u64_e32 vcc_lo, v[8:9], v[5:6]
	s_or_b32 s7, vcc_lo, s7
	s_andn2_b32 exec_lo, exec_lo, s7
	s_cbranch_execnz .LBB3_1496
; %bb.1497:
	s_or_b32 exec_lo, exec_lo, s7
.LBB3_1498:
	s_or_b32 exec_lo, exec_lo, s6
.LBB3_1499:
	s_or_b32 exec_lo, exec_lo, s5
	v_mov_b32_e32 v2, 0
	v_readfirstlane_b32 s6, v8
	v_readfirstlane_b32 s7, v9
	s_mov_b32 s5, exec_lo
	s_clause 0x1
	global_load_dwordx2 v[10:11], v2, s[26:27] offset:40
	global_load_dwordx4 v[4:7], v2, s[26:27]
	s_waitcnt vmcnt(1)
	v_readfirstlane_b32 s10, v10
	v_readfirstlane_b32 s11, v11
	s_and_b64 s[10:11], s[6:7], s[10:11]
	s_mul_i32 s12, s11, 24
	s_mul_hi_u32 s13, s10, 24
	s_mul_i32 s14, s10, 24
	s_add_i32 s13, s13, s12
	s_waitcnt vmcnt(0)
	v_add_co_u32 v8, vcc_lo, v4, s14
	v_add_co_ci_u32_e32 v9, vcc_lo, s13, v5, vcc_lo
	s_and_saveexec_b32 s12, s4
	s_cbranch_execz .LBB3_1501
; %bb.1500:
	v_mov_b32_e32 v10, s5
	v_mov_b32_e32 v11, v2
	;; [unrolled: 1-line block ×4, first 2 shown]
	global_store_dwordx4 v[8:9], v[10:13], off offset:8
.LBB3_1501:
	s_or_b32 exec_lo, exec_lo, s12
	s_lshl_b64 s[10:11], s[10:11], 12
	s_mov_b32 s12, 0
	v_add_co_u32 v6, vcc_lo, v6, s10
	v_add_co_ci_u32_e32 v7, vcc_lo, s11, v7, vcc_lo
	s_mov_b32 s13, s12
	s_mov_b32 s14, s12
	;; [unrolled: 1-line block ×3, first 2 shown]
	v_and_or_b32 v0, 0xffffff1d, v0, 34
	v_mov_b32_e32 v3, v2
	v_readfirstlane_b32 s10, v6
	v_readfirstlane_b32 s11, v7
	v_mov_b32_e32 v10, s12
	v_mov_b32_e32 v11, s13
	;; [unrolled: 1-line block ×4, first 2 shown]
	global_store_dwordx4 v38, v[0:3], s[10:11]
	global_store_dwordx4 v38, v[10:13], s[10:11] offset:16
	global_store_dwordx4 v38, v[10:13], s[10:11] offset:32
	;; [unrolled: 1-line block ×3, first 2 shown]
	s_and_saveexec_b32 s5, s4
	s_cbranch_execz .LBB3_1509
; %bb.1502:
	v_mov_b32_e32 v6, 0
	v_mov_b32_e32 v10, s6
	;; [unrolled: 1-line block ×3, first 2 shown]
	s_clause 0x1
	global_load_dwordx2 v[12:13], v6, s[26:27] offset:32 glc dlc
	global_load_dwordx2 v[0:1], v6, s[26:27] offset:40
	s_waitcnt vmcnt(0)
	v_readfirstlane_b32 s10, v0
	v_readfirstlane_b32 s11, v1
	s_and_b64 s[10:11], s[10:11], s[6:7]
	s_mul_i32 s11, s11, 24
	s_mul_hi_u32 s12, s10, 24
	s_mul_i32 s10, s10, 24
	s_add_i32 s12, s12, s11
	v_add_co_u32 v4, vcc_lo, v4, s10
	v_add_co_ci_u32_e32 v5, vcc_lo, s12, v5, vcc_lo
	s_mov_b32 s10, exec_lo
	global_store_dwordx2 v[4:5], v[12:13], off
	s_waitcnt_vscnt null, 0x0
	global_atomic_cmpswap_x2 v[2:3], v6, v[10:13], s[26:27] offset:32 glc
	s_waitcnt vmcnt(0)
	v_cmpx_ne_u64_e64 v[2:3], v[12:13]
	s_cbranch_execz .LBB3_1505
; %bb.1503:
	s_mov_b32 s11, 0
.LBB3_1504:                             ; =>This Inner Loop Header: Depth=1
	v_mov_b32_e32 v0, s6
	v_mov_b32_e32 v1, s7
	s_sleep 1
	global_store_dwordx2 v[4:5], v[2:3], off
	s_waitcnt_vscnt null, 0x0
	global_atomic_cmpswap_x2 v[0:1], v6, v[0:3], s[26:27] offset:32 glc
	s_waitcnt vmcnt(0)
	v_cmp_eq_u64_e32 vcc_lo, v[0:1], v[2:3]
	v_mov_b32_e32 v3, v1
	v_mov_b32_e32 v2, v0
	s_or_b32 s11, vcc_lo, s11
	s_andn2_b32 exec_lo, exec_lo, s11
	s_cbranch_execnz .LBB3_1504
.LBB3_1505:
	s_or_b32 exec_lo, exec_lo, s10
	v_mov_b32_e32 v3, 0
	s_mov_b32 s11, exec_lo
	s_mov_b32 s10, exec_lo
	v_mbcnt_lo_u32_b32 v2, s11, 0
	global_load_dwordx2 v[0:1], v3, s[26:27] offset:16
	v_cmpx_eq_u32_e32 0, v2
	s_cbranch_execz .LBB3_1507
; %bb.1506:
	s_bcnt1_i32_b32 s11, s11
	v_mov_b32_e32 v2, s11
	s_waitcnt vmcnt(0)
	global_atomic_add_x2 v[0:1], v[2:3], off offset:8
.LBB3_1507:
	s_or_b32 exec_lo, exec_lo, s10
	s_waitcnt vmcnt(0)
	global_load_dwordx2 v[2:3], v[0:1], off offset:16
	s_waitcnt vmcnt(0)
	v_cmp_eq_u64_e32 vcc_lo, 0, v[2:3]
	s_cbranch_vccnz .LBB3_1509
; %bb.1508:
	global_load_dword v0, v[0:1], off offset:24
	v_mov_b32_e32 v1, 0
	s_waitcnt vmcnt(0)
	v_and_b32_e32 v4, 0x7fffff, v0
	s_waitcnt_vscnt null, 0x0
	global_store_dwordx2 v[2:3], v[0:1], off
	v_readfirstlane_b32 m0, v4
	s_sendmsg sendmsg(MSG_INTERRUPT)
.LBB3_1509:
	s_or_b32 exec_lo, exec_lo, s5
	s_branch .LBB3_1513
	.p2align	6
.LBB3_1510:                             ;   in Loop: Header=BB3_1513 Depth=1
	s_or_b32 exec_lo, exec_lo, s5
	v_readfirstlane_b32 s5, v0
	s_cmp_eq_u32 s5, 0
	s_cbranch_scc1 .LBB3_1512
; %bb.1511:                             ;   in Loop: Header=BB3_1513 Depth=1
	s_sleep 1
	s_cbranch_execnz .LBB3_1513
	s_branch .LBB3_1515
	.p2align	6
.LBB3_1512:
	s_branch .LBB3_1515
.LBB3_1513:                             ; =>This Inner Loop Header: Depth=1
	v_mov_b32_e32 v0, 1
	s_and_saveexec_b32 s5, s4
	s_cbranch_execz .LBB3_1510
; %bb.1514:                             ;   in Loop: Header=BB3_1513 Depth=1
	global_load_dword v0, v[8:9], off offset:20 glc dlc
	s_waitcnt vmcnt(0)
	buffer_gl1_inv
	buffer_gl0_inv
	v_and_b32_e32 v0, 1, v0
	s_branch .LBB3_1510
.LBB3_1515:
	s_and_saveexec_b32 s5, s4
	s_cbranch_execz .LBB3_1519
; %bb.1516:
	v_mov_b32_e32 v6, 0
	s_clause 0x2
	global_load_dwordx2 v[2:3], v6, s[26:27] offset:40
	global_load_dwordx2 v[7:8], v6, s[26:27] offset:24 glc dlc
	global_load_dwordx2 v[4:5], v6, s[26:27]
	s_waitcnt vmcnt(2)
	v_add_co_u32 v9, vcc_lo, v2, 1
	v_add_co_ci_u32_e32 v10, vcc_lo, 0, v3, vcc_lo
	v_add_co_u32 v0, vcc_lo, v9, s6
	v_add_co_ci_u32_e32 v1, vcc_lo, s7, v10, vcc_lo
	v_cmp_eq_u64_e32 vcc_lo, 0, v[0:1]
	v_cndmask_b32_e32 v1, v1, v10, vcc_lo
	v_cndmask_b32_e32 v0, v0, v9, vcc_lo
	v_and_b32_e32 v3, v1, v3
	v_and_b32_e32 v2, v0, v2
	v_mul_lo_u32 v3, v3, 24
	v_mul_hi_u32 v9, v2, 24
	v_mul_lo_u32 v2, v2, 24
	v_add_nc_u32_e32 v3, v9, v3
	s_waitcnt vmcnt(0)
	v_add_co_u32 v4, vcc_lo, v4, v2
	v_mov_b32_e32 v2, v7
	v_add_co_ci_u32_e32 v5, vcc_lo, v5, v3, vcc_lo
	v_mov_b32_e32 v3, v8
	global_store_dwordx2 v[4:5], v[7:8], off
	s_waitcnt_vscnt null, 0x0
	global_atomic_cmpswap_x2 v[2:3], v6, v[0:3], s[26:27] offset:24 glc
	s_waitcnt vmcnt(0)
	v_cmp_ne_u64_e32 vcc_lo, v[2:3], v[7:8]
	s_and_b32 exec_lo, exec_lo, vcc_lo
	s_cbranch_execz .LBB3_1519
; %bb.1517:
	s_mov_b32 s4, 0
.LBB3_1518:                             ; =>This Inner Loop Header: Depth=1
	s_sleep 1
	global_store_dwordx2 v[4:5], v[2:3], off
	s_waitcnt_vscnt null, 0x0
	global_atomic_cmpswap_x2 v[7:8], v6, v[0:3], s[26:27] offset:24 glc
	s_waitcnt vmcnt(0)
	v_cmp_eq_u64_e32 vcc_lo, v[7:8], v[2:3]
	v_mov_b32_e32 v2, v7
	v_mov_b32_e32 v3, v8
	s_or_b32 s4, vcc_lo, s4
	s_andn2_b32 exec_lo, exec_lo, s4
	s_cbranch_execnz .LBB3_1518
.LBB3_1519:
	s_or_b32 exec_lo, exec_lo, s5
.LBB3_1520:
	s_getpc_b64 s[4:5]
	s_add_u32 s4, s4, .str.13@rel32@lo+4
	s_addc_u32 s5, s5, .str.13@rel32@hi+12
	s_waitcnt vmcnt(0)
	v_mov_b32_e32 v0, s4
	v_mov_b32_e32 v1, s5
	s_getpc_b64 s[38:39]
	s_add_u32 s38, s38, _ZNK8migraphx13basic_printerIZNS_4coutEvEUlT_E_ElsEPKc@rel32@lo+4
	s_addc_u32 s39, s39, _ZNK8migraphx13basic_printerIZNS_4coutEvEUlT_E_ElsEPKc@rel32@hi+12
	s_mov_b64 s[24:25], s[8:9]
	s_swappc_b64 s[30:31], s[38:39]
	s_getpc_b64 s[4:5]
	s_add_u32 s4, s4, .str.3@rel32@lo+4
	s_addc_u32 s5, s5, .str.3@rel32@hi+12
	v_mov_b32_e32 v0, s4
	v_mov_b32_e32 v1, s5
	s_mov_b64 s[8:9], s[24:25]
	s_swappc_b64 s[30:31], s[38:39]
	v_cndmask_b32_e64 v0, 0, 1, s22
	s_mov_b64 s[8:9], s[24:25]
	s_getpc_b64 s[4:5]
	s_add_u32 s4, s4, _ZN8migraphx4testlsIKNS_13basic_printerIZNS_4coutEvEUlT_E_EEEERS3_S7_RKNS0_14lhs_expressionIbNS0_3nopEEE@rel32@lo+4
	s_addc_u32 s5, s5, _ZN8migraphx4testlsIKNS_13basic_printerIZNS_4coutEvEUlT_E_EEEERS3_S7_RKNS0_14lhs_expressionIbNS0_3nopEEE@rel32@hi+12
	s_swappc_b64 s[30:31], s[4:5]
	s_getpc_b64 s[4:5]
	s_add_u32 s4, s4, .str.4@rel32@lo+4
	s_addc_u32 s5, s5, .str.4@rel32@hi+12
	v_mov_b32_e32 v0, s4
	v_mov_b32_e32 v1, s5
	s_mov_b64 s[8:9], s[24:25]
	s_mov_b64 s[22:23], s[24:25]
	s_swappc_b64 s[30:31], s[38:39]
	v_readfirstlane_b32 s4, v39
	v_mov_b32_e32 v6, 0
	v_mov_b32_e32 v7, 0
	v_cmp_eq_u32_e64 s4, s4, v39
	s_and_saveexec_b32 s5, s4
	s_mov_b32 s14, s37
	s_mov_b32 s13, s36
	;; [unrolled: 1-line block ×3, first 2 shown]
	s_cbranch_execz .LBB3_1526
; %bb.1521:
	v_mov_b32_e32 v0, 0
	s_mov_b32 s6, exec_lo
	global_load_dwordx2 v[3:4], v0, s[26:27] offset:24 glc dlc
	s_waitcnt vmcnt(0)
	buffer_gl1_inv
	buffer_gl0_inv
	s_clause 0x1
	global_load_dwordx2 v[1:2], v0, s[26:27] offset:40
	global_load_dwordx2 v[5:6], v0, s[26:27]
	s_waitcnt vmcnt(1)
	v_and_b32_e32 v2, v2, v4
	v_and_b32_e32 v1, v1, v3
	v_mul_lo_u32 v2, v2, 24
	v_mul_hi_u32 v7, v1, 24
	v_mul_lo_u32 v1, v1, 24
	v_add_nc_u32_e32 v2, v7, v2
	s_waitcnt vmcnt(0)
	v_add_co_u32 v1, vcc_lo, v5, v1
	v_add_co_ci_u32_e32 v2, vcc_lo, v6, v2, vcc_lo
	global_load_dwordx2 v[1:2], v[1:2], off glc dlc
	s_waitcnt vmcnt(0)
	global_atomic_cmpswap_x2 v[6:7], v0, v[1:4], s[26:27] offset:24 glc
	s_waitcnt vmcnt(0)
	buffer_gl1_inv
	buffer_gl0_inv
	v_cmpx_ne_u64_e64 v[6:7], v[3:4]
	s_cbranch_execz .LBB3_1525
; %bb.1522:
	s_mov_b32 s7, 0
	.p2align	6
.LBB3_1523:                             ; =>This Inner Loop Header: Depth=1
	s_sleep 1
	s_clause 0x1
	global_load_dwordx2 v[1:2], v0, s[26:27] offset:40
	global_load_dwordx2 v[8:9], v0, s[26:27]
	v_mov_b32_e32 v3, v6
	v_mov_b32_e32 v4, v7
	s_waitcnt vmcnt(1)
	v_and_b32_e32 v1, v1, v3
	v_and_b32_e32 v2, v2, v4
	s_waitcnt vmcnt(0)
	v_mad_u64_u32 v[5:6], null, v1, 24, v[8:9]
	v_mov_b32_e32 v1, v6
	v_mad_u64_u32 v[1:2], null, v2, 24, v[1:2]
	v_mov_b32_e32 v6, v1
	global_load_dwordx2 v[1:2], v[5:6], off glc dlc
	s_waitcnt vmcnt(0)
	global_atomic_cmpswap_x2 v[6:7], v0, v[1:4], s[26:27] offset:24 glc
	s_waitcnt vmcnt(0)
	buffer_gl1_inv
	buffer_gl0_inv
	v_cmp_eq_u64_e32 vcc_lo, v[6:7], v[3:4]
	s_or_b32 s7, vcc_lo, s7
	s_andn2_b32 exec_lo, exec_lo, s7
	s_cbranch_execnz .LBB3_1523
; %bb.1524:
	s_or_b32 exec_lo, exec_lo, s7
.LBB3_1525:
	s_or_b32 exec_lo, exec_lo, s6
.LBB3_1526:
	s_or_b32 exec_lo, exec_lo, s5
	v_mov_b32_e32 v5, 0
	v_readfirstlane_b32 s6, v6
	v_readfirstlane_b32 s7, v7
	s_mov_b32 s5, exec_lo
	s_clause 0x1
	global_load_dwordx2 v[8:9], v5, s[26:27] offset:40
	global_load_dwordx4 v[0:3], v5, s[26:27]
	s_waitcnt vmcnt(1)
	v_readfirstlane_b32 s8, v8
	v_readfirstlane_b32 s9, v9
	s_and_b64 s[8:9], s[6:7], s[8:9]
	s_mul_i32 s10, s9, 24
	s_mul_hi_u32 s11, s8, 24
	s_mul_i32 s15, s8, 24
	s_add_i32 s11, s11, s10
	s_waitcnt vmcnt(0)
	v_add_co_u32 v8, vcc_lo, v0, s15
	v_add_co_ci_u32_e32 v9, vcc_lo, s11, v1, vcc_lo
	s_and_saveexec_b32 s10, s4
	s_cbranch_execz .LBB3_1528
; %bb.1527:
	v_mov_b32_e32 v4, s5
	v_mov_b32_e32 v6, 2
	;; [unrolled: 1-line block ×3, first 2 shown]
	global_store_dwordx4 v[8:9], v[4:7], off offset:8
.LBB3_1528:
	s_or_b32 exec_lo, exec_lo, s10
	s_lshl_b64 s[8:9], s[8:9], 12
	v_mov_b32_e32 v4, 33
	v_add_co_u32 v2, vcc_lo, v2, s8
	v_add_co_ci_u32_e32 v3, vcc_lo, s9, v3, vcc_lo
	s_mov_b32 s8, 0
	v_add_co_u32 v10, vcc_lo, v2, v38
	s_mov_b32 s11, s8
	s_mov_b32 s9, s8
	;; [unrolled: 1-line block ×3, first 2 shown]
	v_mov_b32_e32 v6, v5
	v_mov_b32_e32 v7, v5
	v_readfirstlane_b32 s16, v2
	v_readfirstlane_b32 s17, v3
	v_mov_b32_e32 v15, s11
	v_add_co_ci_u32_e32 v11, vcc_lo, 0, v3, vcc_lo
	v_mov_b32_e32 v14, s10
	v_mov_b32_e32 v13, s9
	;; [unrolled: 1-line block ×3, first 2 shown]
	global_store_dwordx4 v38, v[4:7], s[16:17]
	global_store_dwordx4 v38, v[12:15], s[16:17] offset:16
	global_store_dwordx4 v38, v[12:15], s[16:17] offset:32
	;; [unrolled: 1-line block ×3, first 2 shown]
	s_and_saveexec_b32 s5, s4
	s_mov_b64 s[8:9], s[22:23]
	s_cbranch_execz .LBB3_1536
; %bb.1529:
	v_mov_b32_e32 v6, 0
	v_mov_b32_e32 v12, s6
	;; [unrolled: 1-line block ×3, first 2 shown]
	s_clause 0x1
	global_load_dwordx2 v[14:15], v6, s[26:27] offset:32 glc dlc
	global_load_dwordx2 v[2:3], v6, s[26:27] offset:40
	s_waitcnt vmcnt(0)
	v_readfirstlane_b32 s10, v2
	v_readfirstlane_b32 s11, v3
	s_and_b64 s[10:11], s[10:11], s[6:7]
	s_mul_i32 s11, s11, 24
	s_mul_hi_u32 s15, s10, 24
	s_mul_i32 s10, s10, 24
	s_add_i32 s15, s15, s11
	v_add_co_u32 v4, vcc_lo, v0, s10
	v_add_co_ci_u32_e32 v5, vcc_lo, s15, v1, vcc_lo
	s_mov_b32 s10, exec_lo
	global_store_dwordx2 v[4:5], v[14:15], off
	s_waitcnt_vscnt null, 0x0
	global_atomic_cmpswap_x2 v[2:3], v6, v[12:15], s[26:27] offset:32 glc
	s_waitcnt vmcnt(0)
	v_cmpx_ne_u64_e64 v[2:3], v[14:15]
	s_cbranch_execz .LBB3_1532
; %bb.1530:
	s_mov_b32 s11, 0
.LBB3_1531:                             ; =>This Inner Loop Header: Depth=1
	v_mov_b32_e32 v0, s6
	v_mov_b32_e32 v1, s7
	s_sleep 1
	global_store_dwordx2 v[4:5], v[2:3], off
	s_waitcnt_vscnt null, 0x0
	global_atomic_cmpswap_x2 v[0:1], v6, v[0:3], s[26:27] offset:32 glc
	s_waitcnt vmcnt(0)
	v_cmp_eq_u64_e32 vcc_lo, v[0:1], v[2:3]
	v_mov_b32_e32 v3, v1
	v_mov_b32_e32 v2, v0
	s_or_b32 s11, vcc_lo, s11
	s_andn2_b32 exec_lo, exec_lo, s11
	s_cbranch_execnz .LBB3_1531
.LBB3_1532:
	s_or_b32 exec_lo, exec_lo, s10
	v_mov_b32_e32 v3, 0
	s_mov_b32 s11, exec_lo
	s_mov_b32 s10, exec_lo
	v_mbcnt_lo_u32_b32 v2, s11, 0
	global_load_dwordx2 v[0:1], v3, s[26:27] offset:16
	v_cmpx_eq_u32_e32 0, v2
	s_cbranch_execz .LBB3_1534
; %bb.1533:
	s_bcnt1_i32_b32 s11, s11
	v_mov_b32_e32 v2, s11
	s_waitcnt vmcnt(0)
	global_atomic_add_x2 v[0:1], v[2:3], off offset:8
.LBB3_1534:
	s_or_b32 exec_lo, exec_lo, s10
	s_waitcnt vmcnt(0)
	global_load_dwordx2 v[2:3], v[0:1], off offset:16
	s_waitcnt vmcnt(0)
	v_cmp_eq_u64_e32 vcc_lo, 0, v[2:3]
	s_cbranch_vccnz .LBB3_1536
; %bb.1535:
	global_load_dword v0, v[0:1], off offset:24
	v_mov_b32_e32 v1, 0
	s_waitcnt vmcnt(0)
	v_and_b32_e32 v4, 0x7fffff, v0
	s_waitcnt_vscnt null, 0x0
	global_store_dwordx2 v[2:3], v[0:1], off
	v_readfirstlane_b32 m0, v4
	s_sendmsg sendmsg(MSG_INTERRUPT)
.LBB3_1536:
	s_or_b32 exec_lo, exec_lo, s5
	s_branch .LBB3_1540
	.p2align	6
.LBB3_1537:                             ;   in Loop: Header=BB3_1540 Depth=1
	s_or_b32 exec_lo, exec_lo, s5
	v_readfirstlane_b32 s5, v0
	s_cmp_eq_u32 s5, 0
	s_cbranch_scc1 .LBB3_1539
; %bb.1538:                             ;   in Loop: Header=BB3_1540 Depth=1
	s_sleep 1
	s_cbranch_execnz .LBB3_1540
	s_branch .LBB3_1542
	.p2align	6
.LBB3_1539:
	s_branch .LBB3_1542
.LBB3_1540:                             ; =>This Inner Loop Header: Depth=1
	v_mov_b32_e32 v0, 1
	s_and_saveexec_b32 s5, s4
	s_cbranch_execz .LBB3_1537
; %bb.1541:                             ;   in Loop: Header=BB3_1540 Depth=1
	global_load_dword v0, v[8:9], off offset:20 glc dlc
	s_waitcnt vmcnt(0)
	buffer_gl1_inv
	buffer_gl0_inv
	v_and_b32_e32 v0, 1, v0
	s_branch .LBB3_1537
.LBB3_1542:
	global_load_dwordx2 v[0:1], v[10:11], off
	s_and_saveexec_b32 s5, s4
	s_cbranch_execz .LBB3_1546
; %bb.1543:
	v_mov_b32_e32 v8, 0
	s_clause 0x2
	global_load_dwordx2 v[4:5], v8, s[26:27] offset:40
	global_load_dwordx2 v[9:10], v8, s[26:27] offset:24 glc dlc
	global_load_dwordx2 v[6:7], v8, s[26:27]
	s_waitcnt vmcnt(2)
	v_add_co_u32 v11, vcc_lo, v4, 1
	v_add_co_ci_u32_e32 v12, vcc_lo, 0, v5, vcc_lo
	v_add_co_u32 v2, vcc_lo, v11, s6
	v_add_co_ci_u32_e32 v3, vcc_lo, s7, v12, vcc_lo
	v_cmp_eq_u64_e32 vcc_lo, 0, v[2:3]
	v_cndmask_b32_e32 v3, v3, v12, vcc_lo
	v_cndmask_b32_e32 v2, v2, v11, vcc_lo
	v_and_b32_e32 v5, v3, v5
	v_and_b32_e32 v4, v2, v4
	v_mul_lo_u32 v5, v5, 24
	v_mul_hi_u32 v11, v4, 24
	v_mul_lo_u32 v4, v4, 24
	v_add_nc_u32_e32 v5, v11, v5
	s_waitcnt vmcnt(0)
	v_add_co_u32 v6, vcc_lo, v6, v4
	v_mov_b32_e32 v4, v9
	v_add_co_ci_u32_e32 v7, vcc_lo, v7, v5, vcc_lo
	v_mov_b32_e32 v5, v10
	global_store_dwordx2 v[6:7], v[9:10], off
	s_waitcnt_vscnt null, 0x0
	global_atomic_cmpswap_x2 v[4:5], v8, v[2:5], s[26:27] offset:24 glc
	s_waitcnt vmcnt(0)
	v_cmp_ne_u64_e32 vcc_lo, v[4:5], v[9:10]
	s_and_b32 exec_lo, exec_lo, vcc_lo
	s_cbranch_execz .LBB3_1546
; %bb.1544:
	s_mov_b32 s4, 0
.LBB3_1545:                             ; =>This Inner Loop Header: Depth=1
	s_sleep 1
	global_store_dwordx2 v[6:7], v[4:5], off
	s_waitcnt_vscnt null, 0x0
	global_atomic_cmpswap_x2 v[9:10], v8, v[2:5], s[26:27] offset:24 glc
	s_waitcnt vmcnt(0)
	v_cmp_eq_u64_e32 vcc_lo, v[9:10], v[4:5]
	v_mov_b32_e32 v4, v9
	v_mov_b32_e32 v5, v10
	s_or_b32 s4, vcc_lo, s4
	s_andn2_b32 exec_lo, exec_lo, s4
	s_cbranch_execnz .LBB3_1545
.LBB3_1546:
	s_or_b32 exec_lo, exec_lo, s5
	s_and_b32 vcc_lo, exec_lo, s34
	s_cbranch_vccz .LBB3_1625
; %bb.1547:
	s_waitcnt vmcnt(0)
	v_and_b32_e32 v31, 2, v0
	v_mov_b32_e32 v6, 0
	v_and_b32_e32 v2, -3, v0
	v_mov_b32_e32 v3, v1
	v_mov_b32_e32 v7, 2
	;; [unrolled: 1-line block ×3, first 2 shown]
	s_mov_b64 s[10:11], 3
	s_getpc_b64 s[6:7]
	s_add_u32 s6, s6, .str.6@rel32@lo+4
	s_addc_u32 s7, s7, .str.6@rel32@hi+12
	s_branch .LBB3_1549
.LBB3_1548:                             ;   in Loop: Header=BB3_1549 Depth=1
	s_or_b32 exec_lo, exec_lo, s5
	s_sub_u32 s10, s10, s16
	s_subb_u32 s11, s11, s17
	s_add_u32 s6, s6, s16
	s_addc_u32 s7, s7, s17
	s_cmp_lg_u64 s[10:11], 0
	s_cbranch_scc0 .LBB3_1624
.LBB3_1549:                             ; =>This Loop Header: Depth=1
                                        ;     Child Loop BB3_1558 Depth 2
                                        ;     Child Loop BB3_1554 Depth 2
	;; [unrolled: 1-line block ×11, first 2 shown]
	v_cmp_lt_u64_e64 s4, s[10:11], 56
	v_cmp_gt_u64_e64 s5, s[10:11], 7
                                        ; implicit-def: $vgpr11_vgpr12
                                        ; implicit-def: $sgpr15
	s_and_b32 s4, s4, exec_lo
	s_cselect_b32 s17, s11, 0
	s_cselect_b32 s16, s10, 56
	s_and_b32 vcc_lo, exec_lo, s5
	s_mov_b32 s4, -1
	s_cbranch_vccz .LBB3_1556
; %bb.1550:                             ;   in Loop: Header=BB3_1549 Depth=1
	s_andn2_b32 vcc_lo, exec_lo, s4
	s_mov_b64 s[4:5], s[6:7]
	s_cbranch_vccz .LBB3_1560
.LBB3_1551:                             ;   in Loop: Header=BB3_1549 Depth=1
	s_cmp_gt_u32 s15, 7
	s_cbranch_scc1 .LBB3_1561
.LBB3_1552:                             ;   in Loop: Header=BB3_1549 Depth=1
	v_mov_b32_e32 v13, 0
	v_mov_b32_e32 v14, 0
	s_cmp_eq_u32 s15, 0
	s_cbranch_scc1 .LBB3_1555
; %bb.1553:                             ;   in Loop: Header=BB3_1549 Depth=1
	s_mov_b64 s[18:19], 0
	s_mov_b64 s[20:21], 0
.LBB3_1554:                             ;   Parent Loop BB3_1549 Depth=1
                                        ; =>  This Inner Loop Header: Depth=2
	s_add_u32 s22, s4, s20
	s_addc_u32 s23, s5, s21
	s_add_u32 s20, s20, 1
	global_load_ubyte v4, v6, s[22:23]
	s_addc_u32 s21, s21, 0
	s_waitcnt vmcnt(0)
	v_and_b32_e32 v5, 0xffff, v4
	v_lshlrev_b64 v[4:5], s18, v[5:6]
	s_add_u32 s18, s18, 8
	s_addc_u32 s19, s19, 0
	s_cmp_lg_u32 s15, s20
	v_or_b32_e32 v13, v4, v13
	v_or_b32_e32 v14, v5, v14
	s_cbranch_scc1 .LBB3_1554
.LBB3_1555:                             ;   in Loop: Header=BB3_1549 Depth=1
	s_mov_b32 s22, 0
	s_cbranch_execz .LBB3_1562
	s_branch .LBB3_1563
.LBB3_1556:                             ;   in Loop: Header=BB3_1549 Depth=1
	v_mov_b32_e32 v11, 0
	v_mov_b32_e32 v12, 0
	s_cmp_eq_u64 s[10:11], 0
	s_mov_b64 s[4:5], 0
	s_cbranch_scc1 .LBB3_1559
; %bb.1557:                             ;   in Loop: Header=BB3_1549 Depth=1
	v_mov_b32_e32 v11, 0
	v_mov_b32_e32 v12, 0
	s_lshl_b64 s[18:19], s[16:17], 3
	s_mov_b64 s[20:21], s[6:7]
.LBB3_1558:                             ;   Parent Loop BB3_1549 Depth=1
                                        ; =>  This Inner Loop Header: Depth=2
	global_load_ubyte v4, v6, s[20:21]
	s_waitcnt vmcnt(0)
	v_and_b32_e32 v5, 0xffff, v4
	v_lshlrev_b64 v[4:5], s4, v[5:6]
	s_add_u32 s4, s4, 8
	s_addc_u32 s5, s5, 0
	s_add_u32 s20, s20, 1
	s_addc_u32 s21, s21, 0
	s_cmp_lg_u32 s18, s4
	v_or_b32_e32 v11, v4, v11
	v_or_b32_e32 v12, v5, v12
	s_cbranch_scc1 .LBB3_1558
.LBB3_1559:                             ;   in Loop: Header=BB3_1549 Depth=1
	s_mov_b32 s15, 0
	s_mov_b64 s[4:5], s[6:7]
	s_cbranch_execnz .LBB3_1551
.LBB3_1560:                             ;   in Loop: Header=BB3_1549 Depth=1
	global_load_dwordx2 v[11:12], v6, s[6:7]
	s_add_i32 s15, s16, -8
	s_add_u32 s4, s6, 8
	s_addc_u32 s5, s7, 0
	s_cmp_gt_u32 s15, 7
	s_cbranch_scc0 .LBB3_1552
.LBB3_1561:                             ;   in Loop: Header=BB3_1549 Depth=1
                                        ; implicit-def: $vgpr13_vgpr14
                                        ; implicit-def: $sgpr22
.LBB3_1562:                             ;   in Loop: Header=BB3_1549 Depth=1
	global_load_dwordx2 v[13:14], v6, s[4:5]
	s_add_i32 s22, s15, -8
	s_add_u32 s4, s4, 8
	s_addc_u32 s5, s5, 0
.LBB3_1563:                             ;   in Loop: Header=BB3_1549 Depth=1
	s_cmp_gt_u32 s22, 7
	s_cbranch_scc1 .LBB3_1568
; %bb.1564:                             ;   in Loop: Header=BB3_1549 Depth=1
	v_mov_b32_e32 v15, 0
	v_mov_b32_e32 v16, 0
	s_cmp_eq_u32 s22, 0
	s_cbranch_scc1 .LBB3_1567
; %bb.1565:                             ;   in Loop: Header=BB3_1549 Depth=1
	s_mov_b64 s[18:19], 0
	s_mov_b64 s[20:21], 0
.LBB3_1566:                             ;   Parent Loop BB3_1549 Depth=1
                                        ; =>  This Inner Loop Header: Depth=2
	s_add_u32 s24, s4, s20
	s_addc_u32 s25, s5, s21
	s_add_u32 s20, s20, 1
	global_load_ubyte v4, v6, s[24:25]
	s_addc_u32 s21, s21, 0
	s_waitcnt vmcnt(0)
	v_and_b32_e32 v5, 0xffff, v4
	v_lshlrev_b64 v[4:5], s18, v[5:6]
	s_add_u32 s18, s18, 8
	s_addc_u32 s19, s19, 0
	s_cmp_lg_u32 s22, s20
	v_or_b32_e32 v15, v4, v15
	v_or_b32_e32 v16, v5, v16
	s_cbranch_scc1 .LBB3_1566
.LBB3_1567:                             ;   in Loop: Header=BB3_1549 Depth=1
	s_mov_b32 s15, 0
	s_cbranch_execz .LBB3_1569
	s_branch .LBB3_1570
.LBB3_1568:                             ;   in Loop: Header=BB3_1549 Depth=1
                                        ; implicit-def: $sgpr15
.LBB3_1569:                             ;   in Loop: Header=BB3_1549 Depth=1
	global_load_dwordx2 v[15:16], v6, s[4:5]
	s_add_i32 s15, s22, -8
	s_add_u32 s4, s4, 8
	s_addc_u32 s5, s5, 0
.LBB3_1570:                             ;   in Loop: Header=BB3_1549 Depth=1
	s_cmp_gt_u32 s15, 7
	s_cbranch_scc1 .LBB3_1575
; %bb.1571:                             ;   in Loop: Header=BB3_1549 Depth=1
	v_mov_b32_e32 v17, 0
	v_mov_b32_e32 v18, 0
	s_cmp_eq_u32 s15, 0
	s_cbranch_scc1 .LBB3_1574
; %bb.1572:                             ;   in Loop: Header=BB3_1549 Depth=1
	s_mov_b64 s[18:19], 0
	s_mov_b64 s[20:21], 0
.LBB3_1573:                             ;   Parent Loop BB3_1549 Depth=1
                                        ; =>  This Inner Loop Header: Depth=2
	s_add_u32 s22, s4, s20
	s_addc_u32 s23, s5, s21
	s_add_u32 s20, s20, 1
	global_load_ubyte v4, v6, s[22:23]
	s_addc_u32 s21, s21, 0
	s_waitcnt vmcnt(0)
	v_and_b32_e32 v5, 0xffff, v4
	v_lshlrev_b64 v[4:5], s18, v[5:6]
	s_add_u32 s18, s18, 8
	s_addc_u32 s19, s19, 0
	s_cmp_lg_u32 s15, s20
	v_or_b32_e32 v17, v4, v17
	v_or_b32_e32 v18, v5, v18
	s_cbranch_scc1 .LBB3_1573
.LBB3_1574:                             ;   in Loop: Header=BB3_1549 Depth=1
	s_mov_b32 s22, 0
	s_cbranch_execz .LBB3_1576
	s_branch .LBB3_1577
.LBB3_1575:                             ;   in Loop: Header=BB3_1549 Depth=1
                                        ; implicit-def: $vgpr17_vgpr18
                                        ; implicit-def: $sgpr22
.LBB3_1576:                             ;   in Loop: Header=BB3_1549 Depth=1
	global_load_dwordx2 v[17:18], v6, s[4:5]
	s_add_i32 s22, s15, -8
	s_add_u32 s4, s4, 8
	s_addc_u32 s5, s5, 0
.LBB3_1577:                             ;   in Loop: Header=BB3_1549 Depth=1
	s_cmp_gt_u32 s22, 7
	s_cbranch_scc1 .LBB3_1582
; %bb.1578:                             ;   in Loop: Header=BB3_1549 Depth=1
	v_mov_b32_e32 v19, 0
	v_mov_b32_e32 v20, 0
	s_cmp_eq_u32 s22, 0
	s_cbranch_scc1 .LBB3_1581
; %bb.1579:                             ;   in Loop: Header=BB3_1549 Depth=1
	s_mov_b64 s[18:19], 0
	s_mov_b64 s[20:21], 0
.LBB3_1580:                             ;   Parent Loop BB3_1549 Depth=1
                                        ; =>  This Inner Loop Header: Depth=2
	s_add_u32 s24, s4, s20
	s_addc_u32 s25, s5, s21
	s_add_u32 s20, s20, 1
	global_load_ubyte v4, v6, s[24:25]
	s_addc_u32 s21, s21, 0
	s_waitcnt vmcnt(0)
	v_and_b32_e32 v5, 0xffff, v4
	v_lshlrev_b64 v[4:5], s18, v[5:6]
	s_add_u32 s18, s18, 8
	s_addc_u32 s19, s19, 0
	s_cmp_lg_u32 s22, s20
	v_or_b32_e32 v19, v4, v19
	v_or_b32_e32 v20, v5, v20
	s_cbranch_scc1 .LBB3_1580
.LBB3_1581:                             ;   in Loop: Header=BB3_1549 Depth=1
	s_mov_b32 s15, 0
	s_cbranch_execz .LBB3_1583
	s_branch .LBB3_1584
.LBB3_1582:                             ;   in Loop: Header=BB3_1549 Depth=1
                                        ; implicit-def: $sgpr15
.LBB3_1583:                             ;   in Loop: Header=BB3_1549 Depth=1
	global_load_dwordx2 v[19:20], v6, s[4:5]
	s_add_i32 s15, s22, -8
	s_add_u32 s4, s4, 8
	s_addc_u32 s5, s5, 0
.LBB3_1584:                             ;   in Loop: Header=BB3_1549 Depth=1
	s_cmp_gt_u32 s15, 7
	s_cbranch_scc1 .LBB3_1589
; %bb.1585:                             ;   in Loop: Header=BB3_1549 Depth=1
	v_mov_b32_e32 v21, 0
	v_mov_b32_e32 v22, 0
	s_cmp_eq_u32 s15, 0
	s_cbranch_scc1 .LBB3_1588
; %bb.1586:                             ;   in Loop: Header=BB3_1549 Depth=1
	s_mov_b64 s[18:19], 0
	s_mov_b64 s[20:21], 0
.LBB3_1587:                             ;   Parent Loop BB3_1549 Depth=1
                                        ; =>  This Inner Loop Header: Depth=2
	s_add_u32 s22, s4, s20
	s_addc_u32 s23, s5, s21
	s_add_u32 s20, s20, 1
	global_load_ubyte v4, v6, s[22:23]
	s_addc_u32 s21, s21, 0
	s_waitcnt vmcnt(0)
	v_and_b32_e32 v5, 0xffff, v4
	v_lshlrev_b64 v[4:5], s18, v[5:6]
	s_add_u32 s18, s18, 8
	s_addc_u32 s19, s19, 0
	s_cmp_lg_u32 s15, s20
	v_or_b32_e32 v21, v4, v21
	v_or_b32_e32 v22, v5, v22
	s_cbranch_scc1 .LBB3_1587
.LBB3_1588:                             ;   in Loop: Header=BB3_1549 Depth=1
	s_mov_b32 s22, 0
	s_cbranch_execz .LBB3_1590
	s_branch .LBB3_1591
.LBB3_1589:                             ;   in Loop: Header=BB3_1549 Depth=1
                                        ; implicit-def: $vgpr21_vgpr22
                                        ; implicit-def: $sgpr22
.LBB3_1590:                             ;   in Loop: Header=BB3_1549 Depth=1
	global_load_dwordx2 v[21:22], v6, s[4:5]
	s_add_i32 s22, s15, -8
	s_add_u32 s4, s4, 8
	s_addc_u32 s5, s5, 0
.LBB3_1591:                             ;   in Loop: Header=BB3_1549 Depth=1
	s_cmp_gt_u32 s22, 7
	s_cbranch_scc1 .LBB3_1596
; %bb.1592:                             ;   in Loop: Header=BB3_1549 Depth=1
	v_mov_b32_e32 v23, 0
	v_mov_b32_e32 v24, 0
	s_cmp_eq_u32 s22, 0
	s_cbranch_scc1 .LBB3_1595
; %bb.1593:                             ;   in Loop: Header=BB3_1549 Depth=1
	s_mov_b64 s[18:19], 0
	s_mov_b64 s[20:21], s[4:5]
.LBB3_1594:                             ;   Parent Loop BB3_1549 Depth=1
                                        ; =>  This Inner Loop Header: Depth=2
	global_load_ubyte v4, v6, s[20:21]
	s_add_i32 s22, s22, -1
	s_waitcnt vmcnt(0)
	v_and_b32_e32 v5, 0xffff, v4
	v_lshlrev_b64 v[4:5], s18, v[5:6]
	s_add_u32 s18, s18, 8
	s_addc_u32 s19, s19, 0
	s_add_u32 s20, s20, 1
	s_addc_u32 s21, s21, 0
	s_cmp_lg_u32 s22, 0
	v_or_b32_e32 v23, v4, v23
	v_or_b32_e32 v24, v5, v24
	s_cbranch_scc1 .LBB3_1594
.LBB3_1595:                             ;   in Loop: Header=BB3_1549 Depth=1
	s_cbranch_execz .LBB3_1597
	s_branch .LBB3_1598
.LBB3_1596:                             ;   in Loop: Header=BB3_1549 Depth=1
.LBB3_1597:                             ;   in Loop: Header=BB3_1549 Depth=1
	global_load_dwordx2 v[23:24], v6, s[4:5]
.LBB3_1598:                             ;   in Loop: Header=BB3_1549 Depth=1
	v_readfirstlane_b32 s4, v39
	s_waitcnt vmcnt(0)
	v_mov_b32_e32 v4, 0
	v_mov_b32_e32 v5, 0
	v_cmp_eq_u32_e64 s4, s4, v39
	s_and_saveexec_b32 s5, s4
	s_cbranch_execz .LBB3_1604
; %bb.1599:                             ;   in Loop: Header=BB3_1549 Depth=1
	global_load_dwordx2 v[27:28], v6, s[26:27] offset:24 glc dlc
	s_waitcnt vmcnt(0)
	buffer_gl1_inv
	buffer_gl0_inv
	s_clause 0x1
	global_load_dwordx2 v[4:5], v6, s[26:27] offset:40
	global_load_dwordx2 v[9:10], v6, s[26:27]
	s_mov_b32 s15, exec_lo
	s_waitcnt vmcnt(1)
	v_and_b32_e32 v5, v5, v28
	v_and_b32_e32 v4, v4, v27
	v_mul_lo_u32 v5, v5, 24
	v_mul_hi_u32 v25, v4, 24
	v_mul_lo_u32 v4, v4, 24
	v_add_nc_u32_e32 v5, v25, v5
	s_waitcnt vmcnt(0)
	v_add_co_u32 v4, vcc_lo, v9, v4
	v_add_co_ci_u32_e32 v5, vcc_lo, v10, v5, vcc_lo
	global_load_dwordx2 v[25:26], v[4:5], off glc dlc
	s_waitcnt vmcnt(0)
	global_atomic_cmpswap_x2 v[4:5], v6, v[25:28], s[26:27] offset:24 glc
	s_waitcnt vmcnt(0)
	buffer_gl1_inv
	buffer_gl0_inv
	v_cmpx_ne_u64_e64 v[4:5], v[27:28]
	s_cbranch_execz .LBB3_1603
; %bb.1600:                             ;   in Loop: Header=BB3_1549 Depth=1
	s_mov_b32 s18, 0
	.p2align	6
.LBB3_1601:                             ;   Parent Loop BB3_1549 Depth=1
                                        ; =>  This Inner Loop Header: Depth=2
	s_sleep 1
	s_clause 0x1
	global_load_dwordx2 v[9:10], v6, s[26:27] offset:40
	global_load_dwordx2 v[25:26], v6, s[26:27]
	v_mov_b32_e32 v28, v5
	v_mov_b32_e32 v27, v4
	s_waitcnt vmcnt(1)
	v_and_b32_e32 v4, v9, v27
	v_and_b32_e32 v9, v10, v28
	s_waitcnt vmcnt(0)
	v_mad_u64_u32 v[4:5], null, v4, 24, v[25:26]
	v_mad_u64_u32 v[9:10], null, v9, 24, v[5:6]
	v_mov_b32_e32 v5, v9
	global_load_dwordx2 v[25:26], v[4:5], off glc dlc
	s_waitcnt vmcnt(0)
	global_atomic_cmpswap_x2 v[4:5], v6, v[25:28], s[26:27] offset:24 glc
	s_waitcnt vmcnt(0)
	buffer_gl1_inv
	buffer_gl0_inv
	v_cmp_eq_u64_e32 vcc_lo, v[4:5], v[27:28]
	s_or_b32 s18, vcc_lo, s18
	s_andn2_b32 exec_lo, exec_lo, s18
	s_cbranch_execnz .LBB3_1601
; %bb.1602:                             ;   in Loop: Header=BB3_1549 Depth=1
	s_or_b32 exec_lo, exec_lo, s18
.LBB3_1603:                             ;   in Loop: Header=BB3_1549 Depth=1
	s_or_b32 exec_lo, exec_lo, s15
.LBB3_1604:                             ;   in Loop: Header=BB3_1549 Depth=1
	s_or_b32 exec_lo, exec_lo, s5
	s_clause 0x1
	global_load_dwordx2 v[9:10], v6, s[26:27] offset:40
	global_load_dwordx4 v[25:28], v6, s[26:27]
	v_readfirstlane_b32 s18, v4
	v_readfirstlane_b32 s19, v5
	s_mov_b32 s5, exec_lo
	s_waitcnt vmcnt(1)
	v_readfirstlane_b32 s20, v9
	v_readfirstlane_b32 s21, v10
	s_and_b64 s[20:21], s[18:19], s[20:21]
	s_mul_i32 s15, s21, 24
	s_mul_hi_u32 s22, s20, 24
	s_mul_i32 s23, s20, 24
	s_add_i32 s22, s22, s15
	s_waitcnt vmcnt(0)
	v_add_co_u32 v29, vcc_lo, v25, s23
	v_add_co_ci_u32_e32 v30, vcc_lo, s22, v26, vcc_lo
	s_and_saveexec_b32 s15, s4
	s_cbranch_execz .LBB3_1606
; %bb.1605:                             ;   in Loop: Header=BB3_1549 Depth=1
	v_mov_b32_e32 v5, s5
	global_store_dwordx4 v[29:30], v[5:8], off offset:8
.LBB3_1606:                             ;   in Loop: Header=BB3_1549 Depth=1
	s_or_b32 exec_lo, exec_lo, s15
	s_lshl_b64 s[20:21], s[20:21], 12
	v_cmp_gt_u64_e64 vcc_lo, s[10:11], 56
	v_or_b32_e32 v5, v2, v31
	v_add_co_u32 v27, s5, v27, s20
	v_add_co_ci_u32_e64 v28, s5, s21, v28, s5
	s_lshl_b32 s5, s16, 2
	v_or_b32_e32 v4, 0, v3
	v_cndmask_b32_e32 v2, v5, v2, vcc_lo
	s_add_i32 s5, s5, 28
	v_readfirstlane_b32 s20, v27
	s_and_b32 s5, s5, 0x1e0
	v_cndmask_b32_e32 v10, v4, v3, vcc_lo
	v_readfirstlane_b32 s21, v28
	v_and_or_b32 v9, 0xffffff1f, v2, s5
	global_store_dwordx4 v38, v[9:12], s[20:21]
	global_store_dwordx4 v38, v[13:16], s[20:21] offset:16
	global_store_dwordx4 v38, v[17:20], s[20:21] offset:32
	global_store_dwordx4 v38, v[21:24], s[20:21] offset:48
	s_and_saveexec_b32 s5, s4
	s_cbranch_execz .LBB3_1614
; %bb.1607:                             ;   in Loop: Header=BB3_1549 Depth=1
	s_clause 0x1
	global_load_dwordx2 v[13:14], v6, s[26:27] offset:32 glc dlc
	global_load_dwordx2 v[2:3], v6, s[26:27] offset:40
	v_mov_b32_e32 v11, s18
	v_mov_b32_e32 v12, s19
	s_waitcnt vmcnt(0)
	v_readfirstlane_b32 s20, v2
	v_readfirstlane_b32 s21, v3
	s_and_b64 s[20:21], s[20:21], s[18:19]
	s_mul_i32 s15, s21, 24
	s_mul_hi_u32 s21, s20, 24
	s_mul_i32 s20, s20, 24
	s_add_i32 s21, s21, s15
	v_add_co_u32 v9, vcc_lo, v25, s20
	v_add_co_ci_u32_e32 v10, vcc_lo, s21, v26, vcc_lo
	s_mov_b32 s15, exec_lo
	global_store_dwordx2 v[9:10], v[13:14], off
	s_waitcnt_vscnt null, 0x0
	global_atomic_cmpswap_x2 v[4:5], v6, v[11:14], s[26:27] offset:32 glc
	s_waitcnt vmcnt(0)
	v_cmpx_ne_u64_e64 v[4:5], v[13:14]
	s_cbranch_execz .LBB3_1610
; %bb.1608:                             ;   in Loop: Header=BB3_1549 Depth=1
	s_mov_b32 s20, 0
.LBB3_1609:                             ;   Parent Loop BB3_1549 Depth=1
                                        ; =>  This Inner Loop Header: Depth=2
	v_mov_b32_e32 v2, s18
	v_mov_b32_e32 v3, s19
	s_sleep 1
	global_store_dwordx2 v[9:10], v[4:5], off
	s_waitcnt_vscnt null, 0x0
	global_atomic_cmpswap_x2 v[2:3], v6, v[2:5], s[26:27] offset:32 glc
	s_waitcnt vmcnt(0)
	v_cmp_eq_u64_e32 vcc_lo, v[2:3], v[4:5]
	v_mov_b32_e32 v5, v3
	v_mov_b32_e32 v4, v2
	s_or_b32 s20, vcc_lo, s20
	s_andn2_b32 exec_lo, exec_lo, s20
	s_cbranch_execnz .LBB3_1609
.LBB3_1610:                             ;   in Loop: Header=BB3_1549 Depth=1
	s_or_b32 exec_lo, exec_lo, s15
	global_load_dwordx2 v[2:3], v6, s[26:27] offset:16
	s_mov_b32 s20, exec_lo
	s_mov_b32 s15, exec_lo
	v_mbcnt_lo_u32_b32 v4, s20, 0
	v_cmpx_eq_u32_e32 0, v4
	s_cbranch_execz .LBB3_1612
; %bb.1611:                             ;   in Loop: Header=BB3_1549 Depth=1
	s_bcnt1_i32_b32 s20, s20
	v_mov_b32_e32 v5, s20
	s_waitcnt vmcnt(0)
	global_atomic_add_x2 v[2:3], v[5:6], off offset:8
.LBB3_1612:                             ;   in Loop: Header=BB3_1549 Depth=1
	s_or_b32 exec_lo, exec_lo, s15
	s_waitcnt vmcnt(0)
	global_load_dwordx2 v[9:10], v[2:3], off offset:16
	s_waitcnt vmcnt(0)
	v_cmp_eq_u64_e32 vcc_lo, 0, v[9:10]
	s_cbranch_vccnz .LBB3_1614
; %bb.1613:                             ;   in Loop: Header=BB3_1549 Depth=1
	global_load_dword v5, v[2:3], off offset:24
	s_waitcnt vmcnt(0)
	v_and_b32_e32 v2, 0x7fffff, v5
	s_waitcnt_vscnt null, 0x0
	global_store_dwordx2 v[9:10], v[5:6], off
	v_readfirstlane_b32 m0, v2
	s_sendmsg sendmsg(MSG_INTERRUPT)
.LBB3_1614:                             ;   in Loop: Header=BB3_1549 Depth=1
	s_or_b32 exec_lo, exec_lo, s5
	v_add_co_u32 v2, vcc_lo, v27, v38
	v_add_co_ci_u32_e32 v3, vcc_lo, 0, v28, vcc_lo
	s_branch .LBB3_1618
	.p2align	6
.LBB3_1615:                             ;   in Loop: Header=BB3_1618 Depth=2
	s_or_b32 exec_lo, exec_lo, s5
	v_readfirstlane_b32 s5, v4
	s_cmp_eq_u32 s5, 0
	s_cbranch_scc1 .LBB3_1617
; %bb.1616:                             ;   in Loop: Header=BB3_1618 Depth=2
	s_sleep 1
	s_cbranch_execnz .LBB3_1618
	s_branch .LBB3_1620
	.p2align	6
.LBB3_1617:                             ;   in Loop: Header=BB3_1549 Depth=1
	s_branch .LBB3_1620
.LBB3_1618:                             ;   Parent Loop BB3_1549 Depth=1
                                        ; =>  This Inner Loop Header: Depth=2
	v_mov_b32_e32 v4, 1
	s_and_saveexec_b32 s5, s4
	s_cbranch_execz .LBB3_1615
; %bb.1619:                             ;   in Loop: Header=BB3_1618 Depth=2
	global_load_dword v4, v[29:30], off offset:20 glc dlc
	s_waitcnt vmcnt(0)
	buffer_gl1_inv
	buffer_gl0_inv
	v_and_b32_e32 v4, 1, v4
	s_branch .LBB3_1615
.LBB3_1620:                             ;   in Loop: Header=BB3_1549 Depth=1
	global_load_dwordx4 v[2:5], v[2:3], off
	s_and_saveexec_b32 s5, s4
	s_cbranch_execz .LBB3_1548
; %bb.1621:                             ;   in Loop: Header=BB3_1549 Depth=1
	s_clause 0x2
	global_load_dwordx2 v[4:5], v6, s[26:27] offset:40
	global_load_dwordx2 v[13:14], v6, s[26:27] offset:24 glc dlc
	global_load_dwordx2 v[11:12], v6, s[26:27]
	s_waitcnt vmcnt(2)
	v_add_co_u32 v15, vcc_lo, v4, 1
	v_add_co_ci_u32_e32 v16, vcc_lo, 0, v5, vcc_lo
	v_add_co_u32 v9, vcc_lo, v15, s18
	v_add_co_ci_u32_e32 v10, vcc_lo, s19, v16, vcc_lo
	v_cmp_eq_u64_e32 vcc_lo, 0, v[9:10]
	v_cndmask_b32_e32 v10, v10, v16, vcc_lo
	v_cndmask_b32_e32 v9, v9, v15, vcc_lo
	v_and_b32_e32 v5, v10, v5
	v_and_b32_e32 v4, v9, v4
	v_mul_lo_u32 v5, v5, 24
	v_mul_hi_u32 v15, v4, 24
	v_mul_lo_u32 v4, v4, 24
	v_add_nc_u32_e32 v5, v15, v5
	s_waitcnt vmcnt(0)
	v_add_co_u32 v4, vcc_lo, v11, v4
	v_mov_b32_e32 v11, v13
	v_add_co_ci_u32_e32 v5, vcc_lo, v12, v5, vcc_lo
	v_mov_b32_e32 v12, v14
	global_store_dwordx2 v[4:5], v[13:14], off
	s_waitcnt_vscnt null, 0x0
	global_atomic_cmpswap_x2 v[11:12], v6, v[9:12], s[26:27] offset:24 glc
	s_waitcnt vmcnt(0)
	v_cmp_ne_u64_e32 vcc_lo, v[11:12], v[13:14]
	s_and_b32 exec_lo, exec_lo, vcc_lo
	s_cbranch_execz .LBB3_1548
; %bb.1622:                             ;   in Loop: Header=BB3_1549 Depth=1
	s_mov_b32 s4, 0
.LBB3_1623:                             ;   Parent Loop BB3_1549 Depth=1
                                        ; =>  This Inner Loop Header: Depth=2
	s_sleep 1
	global_store_dwordx2 v[4:5], v[11:12], off
	s_waitcnt_vscnt null, 0x0
	global_atomic_cmpswap_x2 v[13:14], v6, v[9:12], s[26:27] offset:24 glc
	s_waitcnt vmcnt(0)
	v_cmp_eq_u64_e32 vcc_lo, v[13:14], v[11:12]
	v_mov_b32_e32 v11, v13
	v_mov_b32_e32 v12, v14
	s_or_b32 s4, vcc_lo, s4
	s_andn2_b32 exec_lo, exec_lo, s4
	s_cbranch_execnz .LBB3_1623
	s_branch .LBB3_1548
.LBB3_1624:
	s_branch .LBB3_1653
.LBB3_1625:
                                        ; implicit-def: $vgpr2_vgpr3
	s_cbranch_execz .LBB3_1653
; %bb.1626:
	v_readfirstlane_b32 s4, v39
	v_mov_b32_e32 v8, 0
	v_mov_b32_e32 v9, 0
	v_cmp_eq_u32_e64 s4, s4, v39
	s_and_saveexec_b32 s5, s4
	s_cbranch_execz .LBB3_1632
; %bb.1627:
	s_waitcnt vmcnt(0)
	v_mov_b32_e32 v2, 0
	s_mov_b32 s6, exec_lo
	global_load_dwordx2 v[5:6], v2, s[26:27] offset:24 glc dlc
	s_waitcnt vmcnt(0)
	buffer_gl1_inv
	buffer_gl0_inv
	s_clause 0x1
	global_load_dwordx2 v[3:4], v2, s[26:27] offset:40
	global_load_dwordx2 v[7:8], v2, s[26:27]
	s_waitcnt vmcnt(1)
	v_and_b32_e32 v4, v4, v6
	v_and_b32_e32 v3, v3, v5
	v_mul_lo_u32 v4, v4, 24
	v_mul_hi_u32 v9, v3, 24
	v_mul_lo_u32 v3, v3, 24
	v_add_nc_u32_e32 v4, v9, v4
	s_waitcnt vmcnt(0)
	v_add_co_u32 v3, vcc_lo, v7, v3
	v_add_co_ci_u32_e32 v4, vcc_lo, v8, v4, vcc_lo
	global_load_dwordx2 v[3:4], v[3:4], off glc dlc
	s_waitcnt vmcnt(0)
	global_atomic_cmpswap_x2 v[8:9], v2, v[3:6], s[26:27] offset:24 glc
	s_waitcnt vmcnt(0)
	buffer_gl1_inv
	buffer_gl0_inv
	v_cmpx_ne_u64_e64 v[8:9], v[5:6]
	s_cbranch_execz .LBB3_1631
; %bb.1628:
	s_mov_b32 s7, 0
	.p2align	6
.LBB3_1629:                             ; =>This Inner Loop Header: Depth=1
	s_sleep 1
	s_clause 0x1
	global_load_dwordx2 v[3:4], v2, s[26:27] offset:40
	global_load_dwordx2 v[10:11], v2, s[26:27]
	v_mov_b32_e32 v5, v8
	v_mov_b32_e32 v6, v9
	s_waitcnt vmcnt(1)
	v_and_b32_e32 v3, v3, v5
	v_and_b32_e32 v4, v4, v6
	s_waitcnt vmcnt(0)
	v_mad_u64_u32 v[7:8], null, v3, 24, v[10:11]
	v_mov_b32_e32 v3, v8
	v_mad_u64_u32 v[3:4], null, v4, 24, v[3:4]
	v_mov_b32_e32 v8, v3
	global_load_dwordx2 v[3:4], v[7:8], off glc dlc
	s_waitcnt vmcnt(0)
	global_atomic_cmpswap_x2 v[8:9], v2, v[3:6], s[26:27] offset:24 glc
	s_waitcnt vmcnt(0)
	buffer_gl1_inv
	buffer_gl0_inv
	v_cmp_eq_u64_e32 vcc_lo, v[8:9], v[5:6]
	s_or_b32 s7, vcc_lo, s7
	s_andn2_b32 exec_lo, exec_lo, s7
	s_cbranch_execnz .LBB3_1629
; %bb.1630:
	s_or_b32 exec_lo, exec_lo, s7
.LBB3_1631:
	s_or_b32 exec_lo, exec_lo, s6
.LBB3_1632:
	s_or_b32 exec_lo, exec_lo, s5
	s_waitcnt vmcnt(0)
	v_mov_b32_e32 v2, 0
	v_readfirstlane_b32 s6, v8
	v_readfirstlane_b32 s7, v9
	s_mov_b32 s5, exec_lo
	s_clause 0x1
	global_load_dwordx2 v[10:11], v2, s[26:27] offset:40
	global_load_dwordx4 v[4:7], v2, s[26:27]
	s_waitcnt vmcnt(1)
	v_readfirstlane_b32 s10, v10
	v_readfirstlane_b32 s11, v11
	s_and_b64 s[10:11], s[6:7], s[10:11]
	s_mul_i32 s15, s11, 24
	s_mul_hi_u32 s16, s10, 24
	s_mul_i32 s17, s10, 24
	s_add_i32 s16, s16, s15
	s_waitcnt vmcnt(0)
	v_add_co_u32 v8, vcc_lo, v4, s17
	v_add_co_ci_u32_e32 v9, vcc_lo, s16, v5, vcc_lo
	s_and_saveexec_b32 s15, s4
	s_cbranch_execz .LBB3_1634
; %bb.1633:
	v_mov_b32_e32 v10, s5
	v_mov_b32_e32 v11, v2
	;; [unrolled: 1-line block ×4, first 2 shown]
	global_store_dwordx4 v[8:9], v[10:13], off offset:8
.LBB3_1634:
	s_or_b32 exec_lo, exec_lo, s15
	s_lshl_b64 s[10:11], s[10:11], 12
	s_mov_b32 s16, 0
	v_add_co_u32 v6, vcc_lo, v6, s10
	v_add_co_ci_u32_e32 v7, vcc_lo, s11, v7, vcc_lo
	s_mov_b32 s17, s16
	v_readfirstlane_b32 s10, v6
	v_add_co_u32 v6, vcc_lo, v6, v38
	s_mov_b32 s18, s16
	s_mov_b32 s19, s16
	v_and_or_b32 v0, 0xffffff1f, v0, 32
	v_mov_b32_e32 v3, v2
	v_readfirstlane_b32 s11, v7
	v_mov_b32_e32 v10, s16
	v_add_co_ci_u32_e32 v7, vcc_lo, 0, v7, vcc_lo
	v_mov_b32_e32 v11, s17
	v_mov_b32_e32 v12, s18
	;; [unrolled: 1-line block ×3, first 2 shown]
	global_store_dwordx4 v38, v[0:3], s[10:11]
	global_store_dwordx4 v38, v[10:13], s[10:11] offset:16
	global_store_dwordx4 v38, v[10:13], s[10:11] offset:32
	;; [unrolled: 1-line block ×3, first 2 shown]
	s_and_saveexec_b32 s5, s4
	s_cbranch_execz .LBB3_1642
; %bb.1635:
	v_mov_b32_e32 v10, 0
	v_mov_b32_e32 v11, s6
	;; [unrolled: 1-line block ×3, first 2 shown]
	s_clause 0x1
	global_load_dwordx2 v[13:14], v10, s[26:27] offset:32 glc dlc
	global_load_dwordx2 v[0:1], v10, s[26:27] offset:40
	s_waitcnt vmcnt(0)
	v_readfirstlane_b32 s10, v0
	v_readfirstlane_b32 s11, v1
	s_and_b64 s[10:11], s[10:11], s[6:7]
	s_mul_i32 s11, s11, 24
	s_mul_hi_u32 s15, s10, 24
	s_mul_i32 s10, s10, 24
	s_add_i32 s15, s15, s11
	v_add_co_u32 v4, vcc_lo, v4, s10
	v_add_co_ci_u32_e32 v5, vcc_lo, s15, v5, vcc_lo
	s_mov_b32 s10, exec_lo
	global_store_dwordx2 v[4:5], v[13:14], off
	s_waitcnt_vscnt null, 0x0
	global_atomic_cmpswap_x2 v[2:3], v10, v[11:14], s[26:27] offset:32 glc
	s_waitcnt vmcnt(0)
	v_cmpx_ne_u64_e64 v[2:3], v[13:14]
	s_cbranch_execz .LBB3_1638
; %bb.1636:
	s_mov_b32 s11, 0
.LBB3_1637:                             ; =>This Inner Loop Header: Depth=1
	v_mov_b32_e32 v0, s6
	v_mov_b32_e32 v1, s7
	s_sleep 1
	global_store_dwordx2 v[4:5], v[2:3], off
	s_waitcnt_vscnt null, 0x0
	global_atomic_cmpswap_x2 v[0:1], v10, v[0:3], s[26:27] offset:32 glc
	s_waitcnt vmcnt(0)
	v_cmp_eq_u64_e32 vcc_lo, v[0:1], v[2:3]
	v_mov_b32_e32 v3, v1
	v_mov_b32_e32 v2, v0
	s_or_b32 s11, vcc_lo, s11
	s_andn2_b32 exec_lo, exec_lo, s11
	s_cbranch_execnz .LBB3_1637
.LBB3_1638:
	s_or_b32 exec_lo, exec_lo, s10
	v_mov_b32_e32 v3, 0
	s_mov_b32 s11, exec_lo
	s_mov_b32 s10, exec_lo
	v_mbcnt_lo_u32_b32 v2, s11, 0
	global_load_dwordx2 v[0:1], v3, s[26:27] offset:16
	v_cmpx_eq_u32_e32 0, v2
	s_cbranch_execz .LBB3_1640
; %bb.1639:
	s_bcnt1_i32_b32 s11, s11
	v_mov_b32_e32 v2, s11
	s_waitcnt vmcnt(0)
	global_atomic_add_x2 v[0:1], v[2:3], off offset:8
.LBB3_1640:
	s_or_b32 exec_lo, exec_lo, s10
	s_waitcnt vmcnt(0)
	global_load_dwordx2 v[2:3], v[0:1], off offset:16
	s_waitcnt vmcnt(0)
	v_cmp_eq_u64_e32 vcc_lo, 0, v[2:3]
	s_cbranch_vccnz .LBB3_1642
; %bb.1641:
	global_load_dword v0, v[0:1], off offset:24
	v_mov_b32_e32 v1, 0
	s_waitcnt vmcnt(0)
	v_and_b32_e32 v4, 0x7fffff, v0
	s_waitcnt_vscnt null, 0x0
	global_store_dwordx2 v[2:3], v[0:1], off
	v_readfirstlane_b32 m0, v4
	s_sendmsg sendmsg(MSG_INTERRUPT)
.LBB3_1642:
	s_or_b32 exec_lo, exec_lo, s5
	s_branch .LBB3_1646
	.p2align	6
.LBB3_1643:                             ;   in Loop: Header=BB3_1646 Depth=1
	s_or_b32 exec_lo, exec_lo, s5
	v_readfirstlane_b32 s5, v0
	s_cmp_eq_u32 s5, 0
	s_cbranch_scc1 .LBB3_1645
; %bb.1644:                             ;   in Loop: Header=BB3_1646 Depth=1
	s_sleep 1
	s_cbranch_execnz .LBB3_1646
	s_branch .LBB3_1648
	.p2align	6
.LBB3_1645:
	s_branch .LBB3_1648
.LBB3_1646:                             ; =>This Inner Loop Header: Depth=1
	v_mov_b32_e32 v0, 1
	s_and_saveexec_b32 s5, s4
	s_cbranch_execz .LBB3_1643
; %bb.1647:                             ;   in Loop: Header=BB3_1646 Depth=1
	global_load_dword v0, v[8:9], off offset:20 glc dlc
	s_waitcnt vmcnt(0)
	buffer_gl1_inv
	buffer_gl0_inv
	v_and_b32_e32 v0, 1, v0
	s_branch .LBB3_1643
.LBB3_1648:
	global_load_dwordx2 v[2:3], v[6:7], off
	s_and_saveexec_b32 s5, s4
	s_cbranch_execz .LBB3_1652
; %bb.1649:
	v_mov_b32_e32 v8, 0
	s_clause 0x2
	global_load_dwordx2 v[0:1], v8, s[26:27] offset:40
	global_load_dwordx2 v[9:10], v8, s[26:27] offset:24 glc dlc
	global_load_dwordx2 v[6:7], v8, s[26:27]
	s_waitcnt vmcnt(2)
	v_add_co_u32 v11, vcc_lo, v0, 1
	v_add_co_ci_u32_e32 v12, vcc_lo, 0, v1, vcc_lo
	v_add_co_u32 v4, vcc_lo, v11, s6
	v_add_co_ci_u32_e32 v5, vcc_lo, s7, v12, vcc_lo
	v_cmp_eq_u64_e32 vcc_lo, 0, v[4:5]
	v_cndmask_b32_e32 v5, v5, v12, vcc_lo
	v_cndmask_b32_e32 v4, v4, v11, vcc_lo
	v_and_b32_e32 v1, v5, v1
	v_and_b32_e32 v0, v4, v0
	v_mul_lo_u32 v1, v1, 24
	v_mul_hi_u32 v11, v0, 24
	v_mul_lo_u32 v0, v0, 24
	v_add_nc_u32_e32 v1, v11, v1
	s_waitcnt vmcnt(0)
	v_add_co_u32 v0, vcc_lo, v6, v0
	v_mov_b32_e32 v6, v9
	v_add_co_ci_u32_e32 v1, vcc_lo, v7, v1, vcc_lo
	v_mov_b32_e32 v7, v10
	global_store_dwordx2 v[0:1], v[9:10], off
	s_waitcnt_vscnt null, 0x0
	global_atomic_cmpswap_x2 v[6:7], v8, v[4:7], s[26:27] offset:24 glc
	s_waitcnt vmcnt(0)
	v_cmp_ne_u64_e32 vcc_lo, v[6:7], v[9:10]
	s_and_b32 exec_lo, exec_lo, vcc_lo
	s_cbranch_execz .LBB3_1652
; %bb.1650:
	s_mov_b32 s4, 0
.LBB3_1651:                             ; =>This Inner Loop Header: Depth=1
	s_sleep 1
	global_store_dwordx2 v[0:1], v[6:7], off
	s_waitcnt_vscnt null, 0x0
	global_atomic_cmpswap_x2 v[9:10], v8, v[4:7], s[26:27] offset:24 glc
	s_waitcnt vmcnt(0)
	v_cmp_eq_u64_e32 vcc_lo, v[9:10], v[6:7]
	v_mov_b32_e32 v6, v9
	v_mov_b32_e32 v7, v10
	s_or_b32 s4, vcc_lo, s4
	s_andn2_b32 exec_lo, exec_lo, s4
	s_cbranch_execnz .LBB3_1651
.LBB3_1652:
	s_or_b32 exec_lo, exec_lo, s5
.LBB3_1653:
	v_readfirstlane_b32 s4, v39
	s_waitcnt vmcnt(0)
	v_mov_b32_e32 v0, 0
	v_mov_b32_e32 v1, 0
	v_cmp_eq_u32_e64 s4, s4, v39
	s_and_saveexec_b32 s5, s4
	s_cbranch_execz .LBB3_1659
; %bb.1654:
	v_mov_b32_e32 v4, 0
	s_mov_b32 s6, exec_lo
	global_load_dwordx2 v[7:8], v4, s[26:27] offset:24 glc dlc
	s_waitcnt vmcnt(0)
	buffer_gl1_inv
	buffer_gl0_inv
	s_clause 0x1
	global_load_dwordx2 v[0:1], v4, s[26:27] offset:40
	global_load_dwordx2 v[5:6], v4, s[26:27]
	s_waitcnt vmcnt(1)
	v_and_b32_e32 v1, v1, v8
	v_and_b32_e32 v0, v0, v7
	v_mul_lo_u32 v1, v1, 24
	v_mul_hi_u32 v9, v0, 24
	v_mul_lo_u32 v0, v0, 24
	v_add_nc_u32_e32 v1, v9, v1
	s_waitcnt vmcnt(0)
	v_add_co_u32 v0, vcc_lo, v5, v0
	v_add_co_ci_u32_e32 v1, vcc_lo, v6, v1, vcc_lo
	global_load_dwordx2 v[5:6], v[0:1], off glc dlc
	s_waitcnt vmcnt(0)
	global_atomic_cmpswap_x2 v[0:1], v4, v[5:8], s[26:27] offset:24 glc
	s_waitcnt vmcnt(0)
	buffer_gl1_inv
	buffer_gl0_inv
	v_cmpx_ne_u64_e64 v[0:1], v[7:8]
	s_cbranch_execz .LBB3_1658
; %bb.1655:
	s_mov_b32 s7, 0
	.p2align	6
.LBB3_1656:                             ; =>This Inner Loop Header: Depth=1
	s_sleep 1
	s_clause 0x1
	global_load_dwordx2 v[5:6], v4, s[26:27] offset:40
	global_load_dwordx2 v[9:10], v4, s[26:27]
	v_mov_b32_e32 v8, v1
	v_mov_b32_e32 v7, v0
	s_waitcnt vmcnt(1)
	v_and_b32_e32 v0, v5, v7
	v_and_b32_e32 v5, v6, v8
	s_waitcnt vmcnt(0)
	v_mad_u64_u32 v[0:1], null, v0, 24, v[9:10]
	v_mad_u64_u32 v[5:6], null, v5, 24, v[1:2]
	v_mov_b32_e32 v1, v5
	global_load_dwordx2 v[5:6], v[0:1], off glc dlc
	s_waitcnt vmcnt(0)
	global_atomic_cmpswap_x2 v[0:1], v4, v[5:8], s[26:27] offset:24 glc
	s_waitcnt vmcnt(0)
	buffer_gl1_inv
	buffer_gl0_inv
	v_cmp_eq_u64_e32 vcc_lo, v[0:1], v[7:8]
	s_or_b32 s7, vcc_lo, s7
	s_andn2_b32 exec_lo, exec_lo, s7
	s_cbranch_execnz .LBB3_1656
; %bb.1657:
	s_or_b32 exec_lo, exec_lo, s7
.LBB3_1658:
	s_or_b32 exec_lo, exec_lo, s6
.LBB3_1659:
	s_or_b32 exec_lo, exec_lo, s5
	v_mov_b32_e32 v5, 0
	v_readfirstlane_b32 s6, v0
	v_readfirstlane_b32 s7, v1
	s_mov_b32 s5, exec_lo
	s_clause 0x1
	global_load_dwordx2 v[10:11], v5, s[26:27] offset:40
	global_load_dwordx4 v[6:9], v5, s[26:27]
	s_waitcnt vmcnt(1)
	v_readfirstlane_b32 s10, v10
	v_readfirstlane_b32 s11, v11
	s_and_b64 s[10:11], s[6:7], s[10:11]
	s_mul_i32 s15, s11, 24
	s_mul_hi_u32 s16, s10, 24
	s_mul_i32 s17, s10, 24
	s_add_i32 s16, s16, s15
	s_waitcnt vmcnt(0)
	v_add_co_u32 v10, vcc_lo, v6, s17
	v_add_co_ci_u32_e32 v11, vcc_lo, s16, v7, vcc_lo
	s_and_saveexec_b32 s15, s4
	s_cbranch_execz .LBB3_1661
; %bb.1660:
	v_mov_b32_e32 v4, s5
	v_mov_b32_e32 v13, v5
	;; [unrolled: 1-line block ×5, first 2 shown]
	global_store_dwordx4 v[10:11], v[12:15], off offset:8
.LBB3_1661:
	s_or_b32 exec_lo, exec_lo, s15
	s_lshl_b64 s[10:11], s[10:11], 12
	s_mov_b32 s16, 0
	v_add_co_u32 v0, vcc_lo, v8, s10
	v_add_co_ci_u32_e32 v1, vcc_lo, s11, v9, vcc_lo
	s_mov_b32 s17, s16
	s_mov_b32 s18, s16
	;; [unrolled: 1-line block ×3, first 2 shown]
	v_and_or_b32 v2, 0xffffff1d, v2, 34
	v_mov_b32_e32 v4, 10
	v_readfirstlane_b32 s10, v0
	v_readfirstlane_b32 s11, v1
	v_mov_b32_e32 v12, s16
	v_mov_b32_e32 v13, s17
	;; [unrolled: 1-line block ×4, first 2 shown]
	global_store_dwordx4 v38, v[2:5], s[10:11]
	global_store_dwordx4 v38, v[12:15], s[10:11] offset:16
	global_store_dwordx4 v38, v[12:15], s[10:11] offset:32
	;; [unrolled: 1-line block ×3, first 2 shown]
	s_and_saveexec_b32 s5, s4
	s_cbranch_execz .LBB3_1669
; %bb.1662:
	v_mov_b32_e32 v8, 0
	v_mov_b32_e32 v12, s6
	;; [unrolled: 1-line block ×3, first 2 shown]
	s_clause 0x1
	global_load_dwordx2 v[14:15], v8, s[26:27] offset:32 glc dlc
	global_load_dwordx2 v[0:1], v8, s[26:27] offset:40
	s_waitcnt vmcnt(0)
	v_readfirstlane_b32 s10, v0
	v_readfirstlane_b32 s11, v1
	s_and_b64 s[10:11], s[10:11], s[6:7]
	s_mul_i32 s11, s11, 24
	s_mul_hi_u32 s15, s10, 24
	s_mul_i32 s10, s10, 24
	s_add_i32 s15, s15, s11
	v_add_co_u32 v4, vcc_lo, v6, s10
	v_add_co_ci_u32_e32 v5, vcc_lo, s15, v7, vcc_lo
	s_mov_b32 s10, exec_lo
	global_store_dwordx2 v[4:5], v[14:15], off
	s_waitcnt_vscnt null, 0x0
	global_atomic_cmpswap_x2 v[2:3], v8, v[12:15], s[26:27] offset:32 glc
	s_waitcnt vmcnt(0)
	v_cmpx_ne_u64_e64 v[2:3], v[14:15]
	s_cbranch_execz .LBB3_1665
; %bb.1663:
	s_mov_b32 s11, 0
.LBB3_1664:                             ; =>This Inner Loop Header: Depth=1
	v_mov_b32_e32 v0, s6
	v_mov_b32_e32 v1, s7
	s_sleep 1
	global_store_dwordx2 v[4:5], v[2:3], off
	s_waitcnt_vscnt null, 0x0
	global_atomic_cmpswap_x2 v[0:1], v8, v[0:3], s[26:27] offset:32 glc
	s_waitcnt vmcnt(0)
	v_cmp_eq_u64_e32 vcc_lo, v[0:1], v[2:3]
	v_mov_b32_e32 v3, v1
	v_mov_b32_e32 v2, v0
	s_or_b32 s11, vcc_lo, s11
	s_andn2_b32 exec_lo, exec_lo, s11
	s_cbranch_execnz .LBB3_1664
.LBB3_1665:
	s_or_b32 exec_lo, exec_lo, s10
	v_mov_b32_e32 v3, 0
	s_mov_b32 s11, exec_lo
	s_mov_b32 s10, exec_lo
	v_mbcnt_lo_u32_b32 v2, s11, 0
	global_load_dwordx2 v[0:1], v3, s[26:27] offset:16
	v_cmpx_eq_u32_e32 0, v2
	s_cbranch_execz .LBB3_1667
; %bb.1666:
	s_bcnt1_i32_b32 s11, s11
	v_mov_b32_e32 v2, s11
	s_waitcnt vmcnt(0)
	global_atomic_add_x2 v[0:1], v[2:3], off offset:8
.LBB3_1667:
	s_or_b32 exec_lo, exec_lo, s10
	s_waitcnt vmcnt(0)
	global_load_dwordx2 v[2:3], v[0:1], off offset:16
	s_waitcnt vmcnt(0)
	v_cmp_eq_u64_e32 vcc_lo, 0, v[2:3]
	s_cbranch_vccnz .LBB3_1669
; %bb.1668:
	global_load_dword v0, v[0:1], off offset:24
	v_mov_b32_e32 v1, 0
	s_waitcnt vmcnt(0)
	v_and_b32_e32 v4, 0x7fffff, v0
	s_waitcnt_vscnt null, 0x0
	global_store_dwordx2 v[2:3], v[0:1], off
	v_readfirstlane_b32 m0, v4
	s_sendmsg sendmsg(MSG_INTERRUPT)
.LBB3_1669:
	s_or_b32 exec_lo, exec_lo, s5
	s_branch .LBB3_1673
	.p2align	6
.LBB3_1670:                             ;   in Loop: Header=BB3_1673 Depth=1
	s_or_b32 exec_lo, exec_lo, s5
	v_readfirstlane_b32 s5, v0
	s_cmp_eq_u32 s5, 0
	s_cbranch_scc1 .LBB3_1672
; %bb.1671:                             ;   in Loop: Header=BB3_1673 Depth=1
	s_sleep 1
	s_cbranch_execnz .LBB3_1673
	s_branch .LBB3_1675
	.p2align	6
.LBB3_1672:
	s_branch .LBB3_1675
.LBB3_1673:                             ; =>This Inner Loop Header: Depth=1
	v_mov_b32_e32 v0, 1
	s_and_saveexec_b32 s5, s4
	s_cbranch_execz .LBB3_1670
; %bb.1674:                             ;   in Loop: Header=BB3_1673 Depth=1
	global_load_dword v0, v[10:11], off offset:20 glc dlc
	s_waitcnt vmcnt(0)
	buffer_gl1_inv
	buffer_gl0_inv
	v_and_b32_e32 v0, 1, v0
	s_branch .LBB3_1670
.LBB3_1675:
	s_and_saveexec_b32 s5, s4
	s_cbranch_execz .LBB3_1679
; %bb.1676:
	v_mov_b32_e32 v6, 0
	s_clause 0x2
	global_load_dwordx2 v[2:3], v6, s[26:27] offset:40
	global_load_dwordx2 v[7:8], v6, s[26:27] offset:24 glc dlc
	global_load_dwordx2 v[4:5], v6, s[26:27]
	s_waitcnt vmcnt(2)
	v_add_co_u32 v9, vcc_lo, v2, 1
	v_add_co_ci_u32_e32 v10, vcc_lo, 0, v3, vcc_lo
	v_add_co_u32 v0, vcc_lo, v9, s6
	v_add_co_ci_u32_e32 v1, vcc_lo, s7, v10, vcc_lo
	v_cmp_eq_u64_e32 vcc_lo, 0, v[0:1]
	v_cndmask_b32_e32 v1, v1, v10, vcc_lo
	v_cndmask_b32_e32 v0, v0, v9, vcc_lo
	v_and_b32_e32 v3, v1, v3
	v_and_b32_e32 v2, v0, v2
	v_mul_lo_u32 v3, v3, 24
	v_mul_hi_u32 v9, v2, 24
	v_mul_lo_u32 v2, v2, 24
	v_add_nc_u32_e32 v3, v9, v3
	s_waitcnt vmcnt(0)
	v_add_co_u32 v4, vcc_lo, v4, v2
	v_mov_b32_e32 v2, v7
	v_add_co_ci_u32_e32 v5, vcc_lo, v5, v3, vcc_lo
	v_mov_b32_e32 v3, v8
	global_store_dwordx2 v[4:5], v[7:8], off
	s_waitcnt_vscnt null, 0x0
	global_atomic_cmpswap_x2 v[2:3], v6, v[0:3], s[26:27] offset:24 glc
	s_waitcnt vmcnt(0)
	v_cmp_ne_u64_e32 vcc_lo, v[2:3], v[7:8]
	s_and_b32 exec_lo, exec_lo, vcc_lo
	s_cbranch_execz .LBB3_1679
; %bb.1677:
	s_mov_b32 s4, 0
.LBB3_1678:                             ; =>This Inner Loop Header: Depth=1
	s_sleep 1
	global_store_dwordx2 v[4:5], v[2:3], off
	s_waitcnt_vscnt null, 0x0
	global_atomic_cmpswap_x2 v[7:8], v6, v[0:3], s[26:27] offset:24 glc
	s_waitcnt vmcnt(0)
	v_cmp_eq_u64_e32 vcc_lo, v[7:8], v[2:3]
	v_mov_b32_e32 v2, v7
	v_mov_b32_e32 v3, v8
	s_or_b32 s4, vcc_lo, s4
	s_andn2_b32 exec_lo, exec_lo, s4
	s_cbranch_execnz .LBB3_1678
.LBB3_1679:
	s_or_b32 exec_lo, exec_lo, s5
	flat_load_dwordx2 v[0:1], v[36:37]
	s_waitcnt vmcnt(0) lgkmcnt(0)
	flat_load_dword v2, v[0:1]
	s_waitcnt vmcnt(0) lgkmcnt(0)
	v_add_nc_u32_e32 v2, 1, v2
	flat_store_dword v[0:1], v2
.LBB3_1680:
	s_or_b32 exec_lo, exec_lo, s29
	s_getpc_b64 s[4:5]
	s_add_u32 s4, s4, _ZN8migraphx4test4failEv@rel32@lo+4
	s_addc_u32 s5, s5, _ZN8migraphx4test4failEv@rel32@hi+12
	s_swappc_b64 s[30:31], s[4:5]
	; divergent unreachable
.LBB3_1681:
	s_andn2_saveexec_b32 s4, s28
	s_or_b32 exec_lo, exec_lo, s4
	v_readlane_b32 s30, v40, 0
	v_readlane_b32 s31, v40, 1
	;; [unrolled: 1-line block ×3, first 2 shown]
	s_or_saveexec_b32 s5, -1
	buffer_load_dword v40, off, s[0:3], s33 offset:24 ; 4-byte Folded Reload
	s_mov_b32 exec_lo, s5
	s_addk_i32 s32, 0xfc00
	s_mov_b32 s33, s4
	s_waitcnt vmcnt(0)
	s_setpc_b64 s[30:31]
.Lfunc_end3:
	.size	_ZL22equal_custom_predicateRN8migraphx4test12test_managerE, .Lfunc_end3-_ZL22equal_custom_predicateRN8migraphx4test12test_managerE
                                        ; -- End function
	.section	.AMDGPU.csdata,"",@progbits
; Function info:
; codeLenInByte = 60656
; NumSgprs: 42
; NumVgprs: 41
; ScratchSize: 32
; MemoryBound: 0
	.text
	.protected	gpu_test_kernel         ; -- Begin function gpu_test_kernel
	.globl	gpu_test_kernel
	.p2align	8
	.type	gpu_test_kernel,@function
gpu_test_kernel:                        ; @gpu_test_kernel
; %bb.0:
	s_add_u32 s8, s8, s13
	s_movk_i32 s32, 0x400
	s_addc_u32 s9, s9, 0
	s_setreg_b32 hwreg(HW_REG_FLAT_SCR_LO), s8
	s_setreg_b32 hwreg(HW_REG_FLAT_SCR_HI), s9
	s_load_dwordx2 s[4:5], s[4:5], 0x4
	s_load_dwordx2 s[8:9], s[6:7], 0x8
	s_add_u32 s0, s0, s13
	s_addc_u32 s1, s1, 0
	s_load_dword s41, s[6:7], 0x0
	s_mov_b32 s40, s12
	s_waitcnt lgkmcnt(0)
	s_lshr_b32 s4, s4, 16
	v_mul_u32_u24_e32 v1, s5, v1
	s_mul_i32 s4, s4, s5
	s_cmp_lt_i32 s41, 2
	v_mul_lo_u32 v3, s4, v0
	s_mov_b32 s4, -1
	v_add3_u32 v42, v3, v1, v2
	v_mov_b32_e32 v1, s8
	v_mov_b32_e32 v2, s9
	v_lshlrev_b32_e32 v41, 3, v42
	ds_write_b64 v41, v[1:2]
	s_cbranch_scc1 .LBB4_4
; %bb.1:
	s_cmp_eq_u32 s41, 2
	s_cbranch_scc0 .LBB4_3
; %bb.2:
	s_mov_b64 s[4:5], src_shared_base
	v_mov_b32_e32 v31, v0
	v_mov_b32_e32 v43, v0
	;; [unrolled: 1-line block ×4, first 2 shown]
	s_add_u32 s8, s6, 16
	s_addc_u32 s9, s7, 0
	s_mov_b32 s12, s10
	s_mov_b32 s13, s11
	;; [unrolled: 1-line block ×3, first 2 shown]
	s_getpc_b64 s[16:17]
	s_add_u32 s16, s16, _ZL22equal_custom_predicateRN8migraphx4test12test_managerE@rel32@lo+4
	s_addc_u32 s17, s17, _ZL22equal_custom_predicateRN8migraphx4test12test_managerE@rel32@hi+12
	s_mov_b64 s[42:43], s[6:7]
	s_mov_b32 s45, s11
	s_mov_b32 s44, s10
	s_swappc_b64 s[30:31], s[16:17]
	v_mov_b32_e32 v0, v43
	s_mov_b32 s10, s44
	s_mov_b32 s11, s45
	s_mov_b64 s[6:7], s[42:43]
.LBB4_3:
	s_mov_b32 s4, 0
.LBB4_4:
	s_andn2_b32 vcc_lo, exec_lo, s4
	s_cbranch_vccnz .LBB4_6
; %bb.5:
	s_cmp_lg_u32 s41, 0
	s_mov_b32 s5, 0
	s_cbranch_scc0 .LBB4_7
.LBB4_6:
	s_endpgm
.LBB4_7:
	v_lshlrev_b32_e32 v2, 4, v42
	v_mov_b32_e32 v3, 1
	v_mov_b32_e32 v4, 2
	;; [unrolled: 1-line block ×4, first 2 shown]
	v_add_nc_u32_e32 v1, 0x2000, v2
	v_mov_b32_e32 v6, 4
	v_add_nc_u32_e32 v2, 0x2008, v2
	s_mov_b32 s9, 0
	buffer_store_dword v3, off, s[0:3], 0
	ds_write2_b32 v1, v3, v4 offset1:1
	ds_write2_b32 v2, v5, v6 offset1:1
	buffer_store_dword v4, off, s[0:3], 0 offset:4
	buffer_store_dword v5, off, s[0:3], 0 offset:8
	;; [unrolled: 1-line block ×3, first 2 shown]
                                        ; implicit-def: $sgpr8
                                        ; implicit-def: $sgpr20
	.p2align	6
.LBB4_8:                                ; =>This Inner Loop Header: Depth=1
	v_add_nc_u32_e64 v2, s9, 0
	v_add_nc_u32_e32 v3, s9, v1
	s_add_i32 s4, s9, 4
	s_cmp_eq_u32 s9, 12
	s_mov_b32 s9, s4
	buffer_load_dword v2, v2, s[0:3], 0 offen
	ds_read_b32 v3, v3
	s_cselect_b32 s12, -1, 0
	s_waitcnt vmcnt(0) lgkmcnt(0)
	v_cmp_ne_u32_e32 vcc_lo, v3, v2
	v_cmp_eq_u32_e64 s4, v3, v2
	s_or_b32 s12, vcc_lo, s12
	s_and_b32 s12, exec_lo, s12
	s_or_b32 s5, s12, s5
	s_andn2_b32 s12, s20, exec_lo
	s_and_b32 s4, s4, exec_lo
	s_andn2_b32 s8, s8, exec_lo
	s_and_b32 s13, vcc_lo, exec_lo
	s_or_b32 s20, s12, s4
	s_or_b32 s8, s8, s13
	s_andn2_b32 exec_lo, exec_lo, s5
	s_cbranch_execnz .LBB4_8
; %bb.9:
	s_or_b32 exec_lo, exec_lo, s5
	s_and_saveexec_b32 s4, s8
	s_xor_b32 s4, exec_lo, s4
; %bb.10:
                                        ; implicit-def: $vgpr0
                                        ; implicit-def: $vgpr41
; %bb.11:
	s_andn2_saveexec_b32 s4, s4
	s_cbranch_execz .LBB4_6
; %bb.12:
	s_mov_b32 s33, exec_lo
	v_cmpx_eq_u32_e32 0, v0
	s_cbranch_execz .LBB4_1688
; %bb.13:
	s_load_dwordx2 s[26:27], s[6:7], 0x60
	v_mbcnt_lo_u32_b32 v37, -1, 0
	v_mov_b32_e32 v6, 0
	v_mov_b32_e32 v7, 0
	v_readfirstlane_b32 s4, v37
	v_cmp_eq_u32_e64 s4, s4, v37
	s_and_saveexec_b32 s5, s4
	s_cbranch_execz .LBB4_19
; %bb.14:
	v_mov_b32_e32 v0, 0
	s_mov_b32 s8, exec_lo
	s_waitcnt lgkmcnt(0)
	global_load_dwordx2 v[3:4], v0, s[26:27] offset:24 glc dlc
	s_waitcnt vmcnt(0)
	buffer_gl1_inv
	buffer_gl0_inv
	s_clause 0x1
	global_load_dwordx2 v[1:2], v0, s[26:27] offset:40
	global_load_dwordx2 v[5:6], v0, s[26:27]
	s_waitcnt vmcnt(1)
	v_and_b32_e32 v2, v2, v4
	v_and_b32_e32 v1, v1, v3
	v_mul_lo_u32 v2, v2, 24
	v_mul_hi_u32 v7, v1, 24
	v_mul_lo_u32 v1, v1, 24
	v_add_nc_u32_e32 v2, v7, v2
	s_waitcnt vmcnt(0)
	v_add_co_u32 v1, vcc_lo, v5, v1
	v_add_co_ci_u32_e32 v2, vcc_lo, v6, v2, vcc_lo
	global_load_dwordx2 v[1:2], v[1:2], off glc dlc
	s_waitcnt vmcnt(0)
	global_atomic_cmpswap_x2 v[6:7], v0, v[1:4], s[26:27] offset:24 glc
	s_waitcnt vmcnt(0)
	buffer_gl1_inv
	buffer_gl0_inv
	v_cmpx_ne_u64_e64 v[6:7], v[3:4]
	s_cbranch_execz .LBB4_18
; %bb.15:
	s_mov_b32 s9, 0
	.p2align	6
.LBB4_16:                               ; =>This Inner Loop Header: Depth=1
	s_sleep 1
	s_clause 0x1
	global_load_dwordx2 v[1:2], v0, s[26:27] offset:40
	global_load_dwordx2 v[8:9], v0, s[26:27]
	v_mov_b32_e32 v3, v6
	v_mov_b32_e32 v4, v7
	s_waitcnt vmcnt(1)
	v_and_b32_e32 v1, v1, v3
	v_and_b32_e32 v2, v2, v4
	s_waitcnt vmcnt(0)
	v_mad_u64_u32 v[5:6], null, v1, 24, v[8:9]
	v_mov_b32_e32 v1, v6
	v_mad_u64_u32 v[1:2], null, v2, 24, v[1:2]
	v_mov_b32_e32 v6, v1
	global_load_dwordx2 v[1:2], v[5:6], off glc dlc
	s_waitcnt vmcnt(0)
	global_atomic_cmpswap_x2 v[6:7], v0, v[1:4], s[26:27] offset:24 glc
	s_waitcnt vmcnt(0)
	buffer_gl1_inv
	buffer_gl0_inv
	v_cmp_eq_u64_e32 vcc_lo, v[6:7], v[3:4]
	s_or_b32 s9, vcc_lo, s9
	s_andn2_b32 exec_lo, exec_lo, s9
	s_cbranch_execnz .LBB4_16
; %bb.17:
	s_or_b32 exec_lo, exec_lo, s9
.LBB4_18:
	s_or_b32 exec_lo, exec_lo, s8
.LBB4_19:
	s_or_b32 exec_lo, exec_lo, s5
	v_mov_b32_e32 v5, 0
	v_readfirstlane_b32 s8, v6
	v_readfirstlane_b32 s9, v7
	s_mov_b32 s5, exec_lo
	s_waitcnt lgkmcnt(0)
	s_clause 0x1
	global_load_dwordx2 v[8:9], v5, s[26:27] offset:40
	global_load_dwordx4 v[0:3], v5, s[26:27]
	s_waitcnt vmcnt(1)
	v_readfirstlane_b32 s12, v8
	v_readfirstlane_b32 s13, v9
	s_and_b64 s[12:13], s[8:9], s[12:13]
	s_mul_i32 s14, s13, 24
	s_mul_hi_u32 s15, s12, 24
	s_mul_i32 s16, s12, 24
	s_add_i32 s15, s15, s14
	s_waitcnt vmcnt(0)
	v_add_co_u32 v8, vcc_lo, v0, s16
	v_add_co_ci_u32_e32 v9, vcc_lo, s15, v1, vcc_lo
	s_and_saveexec_b32 s14, s4
	s_cbranch_execz .LBB4_21
; %bb.20:
	v_mov_b32_e32 v4, s5
	v_mov_b32_e32 v6, 2
	;; [unrolled: 1-line block ×3, first 2 shown]
	global_store_dwordx4 v[8:9], v[4:7], off offset:8
.LBB4_21:
	s_or_b32 exec_lo, exec_lo, s14
	s_lshl_b64 s[12:13], s[12:13], 12
	v_lshlrev_b32_e32 v36, 6, v37
	v_add_co_u32 v2, vcc_lo, v2, s12
	v_add_co_ci_u32_e32 v3, vcc_lo, s13, v3, vcc_lo
	s_mov_b32 s12, 0
	v_add_co_u32 v10, vcc_lo, v2, v36
	s_mov_b32 s13, s12
	s_mov_b32 s14, s12
	;; [unrolled: 1-line block ×3, first 2 shown]
	v_mov_b32_e32 v4, 33
	v_mov_b32_e32 v6, v5
	;; [unrolled: 1-line block ×3, first 2 shown]
	v_readfirstlane_b32 s16, v2
	v_readfirstlane_b32 s17, v3
	v_mov_b32_e32 v12, s12
	v_add_co_ci_u32_e32 v11, vcc_lo, 0, v3, vcc_lo
	v_mov_b32_e32 v13, s13
	v_mov_b32_e32 v14, s14
	;; [unrolled: 1-line block ×3, first 2 shown]
	global_store_dwordx4 v36, v[4:7], s[16:17]
	global_store_dwordx4 v36, v[12:15], s[16:17] offset:16
	global_store_dwordx4 v36, v[12:15], s[16:17] offset:32
	;; [unrolled: 1-line block ×3, first 2 shown]
	s_and_saveexec_b32 s5, s4
	s_cbranch_execz .LBB4_29
; %bb.22:
	v_mov_b32_e32 v6, 0
	v_mov_b32_e32 v12, s8
	v_mov_b32_e32 v13, s9
	s_mov_b32 s12, exec_lo
	s_clause 0x1
	global_load_dwordx2 v[14:15], v6, s[26:27] offset:32 glc dlc
	global_load_dwordx2 v[2:3], v6, s[26:27] offset:40
	s_waitcnt vmcnt(0)
	v_and_b32_e32 v3, s9, v3
	v_and_b32_e32 v2, s8, v2
	v_mul_lo_u32 v3, v3, 24
	v_mul_hi_u32 v4, v2, 24
	v_mul_lo_u32 v2, v2, 24
	v_add_nc_u32_e32 v3, v4, v3
	v_add_co_u32 v4, vcc_lo, v0, v2
	v_add_co_ci_u32_e32 v5, vcc_lo, v1, v3, vcc_lo
	global_store_dwordx2 v[4:5], v[14:15], off
	s_waitcnt_vscnt null, 0x0
	global_atomic_cmpswap_x2 v[2:3], v6, v[12:15], s[26:27] offset:32 glc
	s_waitcnt vmcnt(0)
	v_cmpx_ne_u64_e64 v[2:3], v[14:15]
	s_cbranch_execz .LBB4_25
; %bb.23:
	s_mov_b32 s13, 0
.LBB4_24:                               ; =>This Inner Loop Header: Depth=1
	v_mov_b32_e32 v0, s8
	v_mov_b32_e32 v1, s9
	s_sleep 1
	global_store_dwordx2 v[4:5], v[2:3], off
	s_waitcnt_vscnt null, 0x0
	global_atomic_cmpswap_x2 v[0:1], v6, v[0:3], s[26:27] offset:32 glc
	s_waitcnt vmcnt(0)
	v_cmp_eq_u64_e32 vcc_lo, v[0:1], v[2:3]
	v_mov_b32_e32 v3, v1
	v_mov_b32_e32 v2, v0
	s_or_b32 s13, vcc_lo, s13
	s_andn2_b32 exec_lo, exec_lo, s13
	s_cbranch_execnz .LBB4_24
.LBB4_25:
	s_or_b32 exec_lo, exec_lo, s12
	v_mov_b32_e32 v3, 0
	s_mov_b32 s13, exec_lo
	s_mov_b32 s12, exec_lo
	v_mbcnt_lo_u32_b32 v2, s13, 0
	global_load_dwordx2 v[0:1], v3, s[26:27] offset:16
	v_cmpx_eq_u32_e32 0, v2
	s_cbranch_execz .LBB4_27
; %bb.26:
	s_bcnt1_i32_b32 s13, s13
	v_mov_b32_e32 v2, s13
	s_waitcnt vmcnt(0)
	global_atomic_add_x2 v[0:1], v[2:3], off offset:8
.LBB4_27:
	s_or_b32 exec_lo, exec_lo, s12
	s_waitcnt vmcnt(0)
	global_load_dwordx2 v[2:3], v[0:1], off offset:16
	s_waitcnt vmcnt(0)
	v_cmp_eq_u64_e32 vcc_lo, 0, v[2:3]
	s_cbranch_vccnz .LBB4_29
; %bb.28:
	global_load_dword v0, v[0:1], off offset:24
	v_mov_b32_e32 v1, 0
	s_waitcnt vmcnt(0)
	v_and_b32_e32 v4, 0x7fffff, v0
	s_waitcnt_vscnt null, 0x0
	global_store_dwordx2 v[2:3], v[0:1], off
	v_readfirstlane_b32 m0, v4
	s_sendmsg sendmsg(MSG_INTERRUPT)
.LBB4_29:
	s_or_b32 exec_lo, exec_lo, s5
	s_branch .LBB4_33
	.p2align	6
.LBB4_30:                               ;   in Loop: Header=BB4_33 Depth=1
	s_or_b32 exec_lo, exec_lo, s5
	v_readfirstlane_b32 s5, v0
	s_cmp_eq_u32 s5, 0
	s_cbranch_scc1 .LBB4_32
; %bb.31:                               ;   in Loop: Header=BB4_33 Depth=1
	s_sleep 1
	s_cbranch_execnz .LBB4_33
	s_branch .LBB4_35
	.p2align	6
.LBB4_32:
	s_branch .LBB4_35
.LBB4_33:                               ; =>This Inner Loop Header: Depth=1
	v_mov_b32_e32 v0, 1
	s_and_saveexec_b32 s5, s4
	s_cbranch_execz .LBB4_30
; %bb.34:                               ;   in Loop: Header=BB4_33 Depth=1
	global_load_dword v0, v[8:9], off offset:20 glc dlc
	s_waitcnt vmcnt(0)
	buffer_gl1_inv
	buffer_gl0_inv
	v_and_b32_e32 v0, 1, v0
	s_branch .LBB4_30
.LBB4_35:
	global_load_dwordx2 v[4:5], v[10:11], off
	s_and_saveexec_b32 s5, s4
	s_cbranch_execz .LBB4_39
; %bb.36:
	v_mov_b32_e32 v8, 0
	s_clause 0x2
	global_load_dwordx2 v[2:3], v8, s[26:27] offset:40
	global_load_dwordx2 v[9:10], v8, s[26:27] offset:24 glc dlc
	global_load_dwordx2 v[6:7], v8, s[26:27]
	s_waitcnt vmcnt(2)
	v_add_co_u32 v11, vcc_lo, v2, 1
	v_add_co_ci_u32_e32 v12, vcc_lo, 0, v3, vcc_lo
	v_add_co_u32 v0, vcc_lo, v11, s8
	v_add_co_ci_u32_e32 v1, vcc_lo, s9, v12, vcc_lo
	v_cmp_eq_u64_e32 vcc_lo, 0, v[0:1]
	v_cndmask_b32_e32 v1, v1, v12, vcc_lo
	v_cndmask_b32_e32 v0, v0, v11, vcc_lo
	v_and_b32_e32 v3, v1, v3
	v_and_b32_e32 v2, v0, v2
	v_mul_lo_u32 v3, v3, 24
	v_mul_hi_u32 v11, v2, 24
	v_mul_lo_u32 v2, v2, 24
	v_add_nc_u32_e32 v3, v11, v3
	s_waitcnt vmcnt(0)
	v_add_co_u32 v6, vcc_lo, v6, v2
	v_mov_b32_e32 v2, v9
	v_add_co_ci_u32_e32 v7, vcc_lo, v7, v3, vcc_lo
	v_mov_b32_e32 v3, v10
	global_store_dwordx2 v[6:7], v[9:10], off
	s_waitcnt_vscnt null, 0x0
	global_atomic_cmpswap_x2 v[2:3], v8, v[0:3], s[26:27] offset:24 glc
	s_waitcnt vmcnt(0)
	v_cmp_ne_u64_e32 vcc_lo, v[2:3], v[9:10]
	s_and_b32 exec_lo, exec_lo, vcc_lo
	s_cbranch_execz .LBB4_39
; %bb.37:
	s_mov_b32 s4, 0
.LBB4_38:                               ; =>This Inner Loop Header: Depth=1
	s_sleep 1
	global_store_dwordx2 v[6:7], v[2:3], off
	s_waitcnt_vscnt null, 0x0
	global_atomic_cmpswap_x2 v[9:10], v8, v[0:3], s[26:27] offset:24 glc
	s_waitcnt vmcnt(0)
	v_cmp_eq_u64_e32 vcc_lo, v[9:10], v[2:3]
	v_mov_b32_e32 v2, v9
	v_mov_b32_e32 v3, v10
	s_or_b32 s4, vcc_lo, s4
	s_andn2_b32 exec_lo, exec_lo, s4
	s_cbranch_execnz .LBB4_38
.LBB4_39:
	s_or_b32 exec_lo, exec_lo, s5
	s_getpc_b64 s[8:9]
	s_add_u32 s8, s8, .str.5@rel32@lo+4
	s_addc_u32 s9, s9, .str.5@rel32@hi+12
	s_cmp_lg_u64 s[8:9], 0
	s_cselect_b32 s21, -1, 0
	s_and_b32 vcc_lo, exec_lo, s21
	s_cbranch_vccz .LBB4_118
; %bb.40:
	s_waitcnt vmcnt(0)
	v_and_b32_e32 v28, 2, v4
	v_mov_b32_e32 v7, 0
	v_and_b32_e32 v0, -3, v4
	v_mov_b32_e32 v1, v5
	v_mov_b32_e32 v8, 2
	;; [unrolled: 1-line block ×3, first 2 shown]
	s_mov_b64 s[12:13], 3
	s_branch .LBB4_42
.LBB4_41:                               ;   in Loop: Header=BB4_42 Depth=1
	s_or_b32 exec_lo, exec_lo, s5
	s_sub_u32 s12, s12, s14
	s_subb_u32 s13, s13, s15
	s_add_u32 s8, s8, s14
	s_addc_u32 s9, s9, s15
	s_cmp_lg_u64 s[12:13], 0
	s_cbranch_scc0 .LBB4_117
.LBB4_42:                               ; =>This Loop Header: Depth=1
                                        ;     Child Loop BB4_51 Depth 2
                                        ;     Child Loop BB4_47 Depth 2
                                        ;     Child Loop BB4_59 Depth 2
                                        ;     Child Loop BB4_66 Depth 2
                                        ;     Child Loop BB4_73 Depth 2
                                        ;     Child Loop BB4_80 Depth 2
                                        ;     Child Loop BB4_87 Depth 2
                                        ;     Child Loop BB4_94 Depth 2
                                        ;     Child Loop BB4_102 Depth 2
                                        ;     Child Loop BB4_111 Depth 2
                                        ;     Child Loop BB4_116 Depth 2
	v_cmp_lt_u64_e64 s4, s[12:13], 56
	v_cmp_gt_u64_e64 s5, s[12:13], 7
                                        ; implicit-def: $vgpr2_vgpr3
                                        ; implicit-def: $sgpr22
	s_and_b32 s4, s4, exec_lo
	s_cselect_b32 s15, s13, 0
	s_cselect_b32 s14, s12, 56
	s_and_b32 vcc_lo, exec_lo, s5
	s_mov_b32 s4, -1
	s_cbranch_vccz .LBB4_49
; %bb.43:                               ;   in Loop: Header=BB4_42 Depth=1
	s_andn2_b32 vcc_lo, exec_lo, s4
	s_mov_b64 s[4:5], s[8:9]
	s_cbranch_vccz .LBB4_53
.LBB4_44:                               ;   in Loop: Header=BB4_42 Depth=1
	s_cmp_gt_u32 s22, 7
	s_cbranch_scc1 .LBB4_54
.LBB4_45:                               ;   in Loop: Header=BB4_42 Depth=1
	v_mov_b32_e32 v10, 0
	v_mov_b32_e32 v11, 0
	s_cmp_eq_u32 s22, 0
	s_cbranch_scc1 .LBB4_48
; %bb.46:                               ;   in Loop: Header=BB4_42 Depth=1
	s_mov_b64 s[16:17], 0
	s_mov_b64 s[18:19], 0
.LBB4_47:                               ;   Parent Loop BB4_42 Depth=1
                                        ; =>  This Inner Loop Header: Depth=2
	s_add_u32 s24, s4, s18
	s_addc_u32 s25, s5, s19
	s_add_u32 s18, s18, 1
	global_load_ubyte v6, v7, s[24:25]
	s_addc_u32 s19, s19, 0
	s_waitcnt vmcnt(0)
	v_and_b32_e32 v6, 0xffff, v6
	v_lshlrev_b64 v[12:13], s16, v[6:7]
	s_add_u32 s16, s16, 8
	s_addc_u32 s17, s17, 0
	s_cmp_lg_u32 s22, s18
	v_or_b32_e32 v10, v12, v10
	v_or_b32_e32 v11, v13, v11
	s_cbranch_scc1 .LBB4_47
.LBB4_48:                               ;   in Loop: Header=BB4_42 Depth=1
	s_mov_b32 s23, 0
	s_cbranch_execz .LBB4_55
	s_branch .LBB4_56
.LBB4_49:                               ;   in Loop: Header=BB4_42 Depth=1
	s_waitcnt vmcnt(0)
	v_mov_b32_e32 v2, 0
	v_mov_b32_e32 v3, 0
	s_cmp_eq_u64 s[12:13], 0
	s_mov_b64 s[4:5], 0
	s_cbranch_scc1 .LBB4_52
; %bb.50:                               ;   in Loop: Header=BB4_42 Depth=1
	v_mov_b32_e32 v2, 0
	v_mov_b32_e32 v3, 0
	s_lshl_b64 s[16:17], s[14:15], 3
	s_mov_b64 s[18:19], s[8:9]
.LBB4_51:                               ;   Parent Loop BB4_42 Depth=1
                                        ; =>  This Inner Loop Header: Depth=2
	global_load_ubyte v6, v7, s[18:19]
	s_waitcnt vmcnt(0)
	v_and_b32_e32 v6, 0xffff, v6
	v_lshlrev_b64 v[10:11], s4, v[6:7]
	s_add_u32 s4, s4, 8
	s_addc_u32 s5, s5, 0
	s_add_u32 s18, s18, 1
	s_addc_u32 s19, s19, 0
	s_cmp_lg_u32 s16, s4
	v_or_b32_e32 v2, v10, v2
	v_or_b32_e32 v3, v11, v3
	s_cbranch_scc1 .LBB4_51
.LBB4_52:                               ;   in Loop: Header=BB4_42 Depth=1
	s_mov_b32 s22, 0
	s_mov_b64 s[4:5], s[8:9]
	s_cbranch_execnz .LBB4_44
.LBB4_53:                               ;   in Loop: Header=BB4_42 Depth=1
	global_load_dwordx2 v[2:3], v7, s[8:9]
	s_add_i32 s22, s14, -8
	s_add_u32 s4, s8, 8
	s_addc_u32 s5, s9, 0
	s_cmp_gt_u32 s22, 7
	s_cbranch_scc0 .LBB4_45
.LBB4_54:                               ;   in Loop: Header=BB4_42 Depth=1
                                        ; implicit-def: $vgpr10_vgpr11
                                        ; implicit-def: $sgpr23
.LBB4_55:                               ;   in Loop: Header=BB4_42 Depth=1
	global_load_dwordx2 v[10:11], v7, s[4:5]
	s_add_i32 s23, s22, -8
	s_add_u32 s4, s4, 8
	s_addc_u32 s5, s5, 0
.LBB4_56:                               ;   in Loop: Header=BB4_42 Depth=1
	s_cmp_gt_u32 s23, 7
	s_cbranch_scc1 .LBB4_61
; %bb.57:                               ;   in Loop: Header=BB4_42 Depth=1
	v_mov_b32_e32 v12, 0
	v_mov_b32_e32 v13, 0
	s_cmp_eq_u32 s23, 0
	s_cbranch_scc1 .LBB4_60
; %bb.58:                               ;   in Loop: Header=BB4_42 Depth=1
	s_mov_b64 s[16:17], 0
	s_mov_b64 s[18:19], 0
.LBB4_59:                               ;   Parent Loop BB4_42 Depth=1
                                        ; =>  This Inner Loop Header: Depth=2
	s_add_u32 s24, s4, s18
	s_addc_u32 s25, s5, s19
	s_add_u32 s18, s18, 1
	global_load_ubyte v6, v7, s[24:25]
	s_addc_u32 s19, s19, 0
	s_waitcnt vmcnt(0)
	v_and_b32_e32 v6, 0xffff, v6
	v_lshlrev_b64 v[14:15], s16, v[6:7]
	s_add_u32 s16, s16, 8
	s_addc_u32 s17, s17, 0
	s_cmp_lg_u32 s23, s18
	v_or_b32_e32 v12, v14, v12
	v_or_b32_e32 v13, v15, v13
	s_cbranch_scc1 .LBB4_59
.LBB4_60:                               ;   in Loop: Header=BB4_42 Depth=1
	s_mov_b32 s22, 0
	s_cbranch_execz .LBB4_62
	s_branch .LBB4_63
.LBB4_61:                               ;   in Loop: Header=BB4_42 Depth=1
                                        ; implicit-def: $sgpr22
.LBB4_62:                               ;   in Loop: Header=BB4_42 Depth=1
	global_load_dwordx2 v[12:13], v7, s[4:5]
	s_add_i32 s22, s23, -8
	s_add_u32 s4, s4, 8
	s_addc_u32 s5, s5, 0
.LBB4_63:                               ;   in Loop: Header=BB4_42 Depth=1
	s_cmp_gt_u32 s22, 7
	s_cbranch_scc1 .LBB4_68
; %bb.64:                               ;   in Loop: Header=BB4_42 Depth=1
	v_mov_b32_e32 v14, 0
	v_mov_b32_e32 v15, 0
	s_cmp_eq_u32 s22, 0
	s_cbranch_scc1 .LBB4_67
; %bb.65:                               ;   in Loop: Header=BB4_42 Depth=1
	s_mov_b64 s[16:17], 0
	s_mov_b64 s[18:19], 0
.LBB4_66:                               ;   Parent Loop BB4_42 Depth=1
                                        ; =>  This Inner Loop Header: Depth=2
	s_add_u32 s24, s4, s18
	s_addc_u32 s25, s5, s19
	s_add_u32 s18, s18, 1
	global_load_ubyte v6, v7, s[24:25]
	s_addc_u32 s19, s19, 0
	s_waitcnt vmcnt(0)
	v_and_b32_e32 v6, 0xffff, v6
	v_lshlrev_b64 v[16:17], s16, v[6:7]
	s_add_u32 s16, s16, 8
	s_addc_u32 s17, s17, 0
	s_cmp_lg_u32 s22, s18
	v_or_b32_e32 v14, v16, v14
	v_or_b32_e32 v15, v17, v15
	s_cbranch_scc1 .LBB4_66
.LBB4_67:                               ;   in Loop: Header=BB4_42 Depth=1
	s_mov_b32 s23, 0
	s_cbranch_execz .LBB4_69
	s_branch .LBB4_70
.LBB4_68:                               ;   in Loop: Header=BB4_42 Depth=1
                                        ; implicit-def: $vgpr14_vgpr15
                                        ; implicit-def: $sgpr23
.LBB4_69:                               ;   in Loop: Header=BB4_42 Depth=1
	global_load_dwordx2 v[14:15], v7, s[4:5]
	s_add_i32 s23, s22, -8
	s_add_u32 s4, s4, 8
	s_addc_u32 s5, s5, 0
.LBB4_70:                               ;   in Loop: Header=BB4_42 Depth=1
	s_cmp_gt_u32 s23, 7
	s_cbranch_scc1 .LBB4_75
; %bb.71:                               ;   in Loop: Header=BB4_42 Depth=1
	v_mov_b32_e32 v16, 0
	v_mov_b32_e32 v17, 0
	s_cmp_eq_u32 s23, 0
	s_cbranch_scc1 .LBB4_74
; %bb.72:                               ;   in Loop: Header=BB4_42 Depth=1
	s_mov_b64 s[16:17], 0
	s_mov_b64 s[18:19], 0
.LBB4_73:                               ;   Parent Loop BB4_42 Depth=1
                                        ; =>  This Inner Loop Header: Depth=2
	s_add_u32 s24, s4, s18
	s_addc_u32 s25, s5, s19
	s_add_u32 s18, s18, 1
	global_load_ubyte v6, v7, s[24:25]
	s_addc_u32 s19, s19, 0
	s_waitcnt vmcnt(0)
	v_and_b32_e32 v6, 0xffff, v6
	v_lshlrev_b64 v[18:19], s16, v[6:7]
	s_add_u32 s16, s16, 8
	s_addc_u32 s17, s17, 0
	s_cmp_lg_u32 s23, s18
	v_or_b32_e32 v16, v18, v16
	v_or_b32_e32 v17, v19, v17
	s_cbranch_scc1 .LBB4_73
.LBB4_74:                               ;   in Loop: Header=BB4_42 Depth=1
	s_mov_b32 s22, 0
	s_cbranch_execz .LBB4_76
	s_branch .LBB4_77
.LBB4_75:                               ;   in Loop: Header=BB4_42 Depth=1
                                        ; implicit-def: $sgpr22
.LBB4_76:                               ;   in Loop: Header=BB4_42 Depth=1
	global_load_dwordx2 v[16:17], v7, s[4:5]
	s_add_i32 s22, s23, -8
	s_add_u32 s4, s4, 8
	s_addc_u32 s5, s5, 0
.LBB4_77:                               ;   in Loop: Header=BB4_42 Depth=1
	s_cmp_gt_u32 s22, 7
	s_cbranch_scc1 .LBB4_82
; %bb.78:                               ;   in Loop: Header=BB4_42 Depth=1
	v_mov_b32_e32 v18, 0
	v_mov_b32_e32 v19, 0
	s_cmp_eq_u32 s22, 0
	s_cbranch_scc1 .LBB4_81
; %bb.79:                               ;   in Loop: Header=BB4_42 Depth=1
	s_mov_b64 s[16:17], 0
	s_mov_b64 s[18:19], 0
.LBB4_80:                               ;   Parent Loop BB4_42 Depth=1
                                        ; =>  This Inner Loop Header: Depth=2
	s_add_u32 s24, s4, s18
	s_addc_u32 s25, s5, s19
	s_add_u32 s18, s18, 1
	global_load_ubyte v6, v7, s[24:25]
	s_addc_u32 s19, s19, 0
	s_waitcnt vmcnt(0)
	v_and_b32_e32 v6, 0xffff, v6
	v_lshlrev_b64 v[20:21], s16, v[6:7]
	s_add_u32 s16, s16, 8
	s_addc_u32 s17, s17, 0
	s_cmp_lg_u32 s22, s18
	v_or_b32_e32 v18, v20, v18
	v_or_b32_e32 v19, v21, v19
	s_cbranch_scc1 .LBB4_80
.LBB4_81:                               ;   in Loop: Header=BB4_42 Depth=1
	s_mov_b32 s23, 0
	s_cbranch_execz .LBB4_83
	s_branch .LBB4_84
.LBB4_82:                               ;   in Loop: Header=BB4_42 Depth=1
                                        ; implicit-def: $vgpr18_vgpr19
                                        ; implicit-def: $sgpr23
.LBB4_83:                               ;   in Loop: Header=BB4_42 Depth=1
	global_load_dwordx2 v[18:19], v7, s[4:5]
	s_add_i32 s23, s22, -8
	s_add_u32 s4, s4, 8
	s_addc_u32 s5, s5, 0
.LBB4_84:                               ;   in Loop: Header=BB4_42 Depth=1
	s_cmp_gt_u32 s23, 7
	s_cbranch_scc1 .LBB4_89
; %bb.85:                               ;   in Loop: Header=BB4_42 Depth=1
	v_mov_b32_e32 v20, 0
	v_mov_b32_e32 v21, 0
	s_cmp_eq_u32 s23, 0
	s_cbranch_scc1 .LBB4_88
; %bb.86:                               ;   in Loop: Header=BB4_42 Depth=1
	s_mov_b64 s[16:17], 0
	s_mov_b64 s[18:19], s[4:5]
.LBB4_87:                               ;   Parent Loop BB4_42 Depth=1
                                        ; =>  This Inner Loop Header: Depth=2
	global_load_ubyte v6, v7, s[18:19]
	s_add_i32 s23, s23, -1
	s_waitcnt vmcnt(0)
	v_and_b32_e32 v6, 0xffff, v6
	v_lshlrev_b64 v[22:23], s16, v[6:7]
	s_add_u32 s16, s16, 8
	s_addc_u32 s17, s17, 0
	s_add_u32 s18, s18, 1
	s_addc_u32 s19, s19, 0
	s_cmp_lg_u32 s23, 0
	v_or_b32_e32 v20, v22, v20
	v_or_b32_e32 v21, v23, v21
	s_cbranch_scc1 .LBB4_87
.LBB4_88:                               ;   in Loop: Header=BB4_42 Depth=1
	s_cbranch_execz .LBB4_90
	s_branch .LBB4_91
.LBB4_89:                               ;   in Loop: Header=BB4_42 Depth=1
.LBB4_90:                               ;   in Loop: Header=BB4_42 Depth=1
	global_load_dwordx2 v[20:21], v7, s[4:5]
.LBB4_91:                               ;   in Loop: Header=BB4_42 Depth=1
	v_readfirstlane_b32 s4, v37
	v_mov_b32_e32 v26, 0
	v_mov_b32_e32 v27, 0
	v_cmp_eq_u32_e64 s4, s4, v37
	s_and_saveexec_b32 s5, s4
	s_cbranch_execz .LBB4_97
; %bb.92:                               ;   in Loop: Header=BB4_42 Depth=1
	global_load_dwordx2 v[24:25], v7, s[26:27] offset:24 glc dlc
	s_waitcnt vmcnt(0)
	buffer_gl1_inv
	buffer_gl0_inv
	s_clause 0x1
	global_load_dwordx2 v[22:23], v7, s[26:27] offset:40
	global_load_dwordx2 v[26:27], v7, s[26:27]
	s_mov_b32 s16, exec_lo
	s_waitcnt vmcnt(1)
	v_and_b32_e32 v6, v23, v25
	v_and_b32_e32 v22, v22, v24
	v_mul_lo_u32 v6, v6, 24
	v_mul_hi_u32 v23, v22, 24
	v_mul_lo_u32 v22, v22, 24
	v_add_nc_u32_e32 v6, v23, v6
	s_waitcnt vmcnt(0)
	v_add_co_u32 v22, vcc_lo, v26, v22
	v_add_co_ci_u32_e32 v23, vcc_lo, v27, v6, vcc_lo
	global_load_dwordx2 v[22:23], v[22:23], off glc dlc
	s_waitcnt vmcnt(0)
	global_atomic_cmpswap_x2 v[26:27], v7, v[22:25], s[26:27] offset:24 glc
	s_waitcnt vmcnt(0)
	buffer_gl1_inv
	buffer_gl0_inv
	v_cmpx_ne_u64_e64 v[26:27], v[24:25]
	s_cbranch_execz .LBB4_96
; %bb.93:                               ;   in Loop: Header=BB4_42 Depth=1
	s_mov_b32 s17, 0
	.p2align	6
.LBB4_94:                               ;   Parent Loop BB4_42 Depth=1
                                        ; =>  This Inner Loop Header: Depth=2
	s_sleep 1
	s_clause 0x1
	global_load_dwordx2 v[22:23], v7, s[26:27] offset:40
	global_load_dwordx2 v[29:30], v7, s[26:27]
	v_mov_b32_e32 v24, v26
	v_mov_b32_e32 v25, v27
	s_waitcnt vmcnt(1)
	v_and_b32_e32 v6, v22, v24
	v_and_b32_e32 v22, v23, v25
	s_waitcnt vmcnt(0)
	v_mad_u64_u32 v[26:27], null, v6, 24, v[29:30]
	v_mov_b32_e32 v6, v27
	v_mad_u64_u32 v[22:23], null, v22, 24, v[6:7]
	v_mov_b32_e32 v27, v22
	global_load_dwordx2 v[22:23], v[26:27], off glc dlc
	s_waitcnt vmcnt(0)
	global_atomic_cmpswap_x2 v[26:27], v7, v[22:25], s[26:27] offset:24 glc
	s_waitcnt vmcnt(0)
	buffer_gl1_inv
	buffer_gl0_inv
	v_cmp_eq_u64_e32 vcc_lo, v[26:27], v[24:25]
	s_or_b32 s17, vcc_lo, s17
	s_andn2_b32 exec_lo, exec_lo, s17
	s_cbranch_execnz .LBB4_94
; %bb.95:                               ;   in Loop: Header=BB4_42 Depth=1
	s_or_b32 exec_lo, exec_lo, s17
.LBB4_96:                               ;   in Loop: Header=BB4_42 Depth=1
	s_or_b32 exec_lo, exec_lo, s16
.LBB4_97:                               ;   in Loop: Header=BB4_42 Depth=1
	s_or_b32 exec_lo, exec_lo, s5
	s_clause 0x1
	global_load_dwordx2 v[29:30], v7, s[26:27] offset:40
	global_load_dwordx4 v[22:25], v7, s[26:27]
	v_readfirstlane_b32 s16, v26
	v_readfirstlane_b32 s17, v27
	s_mov_b32 s5, exec_lo
	s_waitcnt vmcnt(1)
	v_readfirstlane_b32 s18, v29
	v_readfirstlane_b32 s19, v30
	s_and_b64 s[18:19], s[16:17], s[18:19]
	s_mul_i32 s22, s19, 24
	s_mul_hi_u32 s23, s18, 24
	s_mul_i32 s24, s18, 24
	s_add_i32 s23, s23, s22
	s_waitcnt vmcnt(0)
	v_add_co_u32 v26, vcc_lo, v22, s24
	v_add_co_ci_u32_e32 v27, vcc_lo, s23, v23, vcc_lo
	s_and_saveexec_b32 s22, s4
	s_cbranch_execz .LBB4_99
; %bb.98:                               ;   in Loop: Header=BB4_42 Depth=1
	v_mov_b32_e32 v6, s5
	global_store_dwordx4 v[26:27], v[6:9], off offset:8
.LBB4_99:                               ;   in Loop: Header=BB4_42 Depth=1
	s_or_b32 exec_lo, exec_lo, s22
	s_lshl_b64 s[18:19], s[18:19], 12
	v_cmp_gt_u64_e64 vcc_lo, s[12:13], 56
	v_or_b32_e32 v29, v0, v28
	v_add_co_u32 v24, s5, v24, s18
	v_add_co_ci_u32_e64 v25, s5, s19, v25, s5
	s_lshl_b32 s5, s14, 2
	v_or_b32_e32 v6, 0, v1
	v_cndmask_b32_e32 v0, v29, v0, vcc_lo
	s_add_i32 s5, s5, 28
	v_readfirstlane_b32 s18, v24
	s_and_b32 s5, s5, 0x1e0
	v_cndmask_b32_e32 v1, v6, v1, vcc_lo
	v_readfirstlane_b32 s19, v25
	v_and_or_b32 v0, 0xffffff1f, v0, s5
	global_store_dwordx4 v36, v[0:3], s[18:19]
	global_store_dwordx4 v36, v[10:13], s[18:19] offset:16
	global_store_dwordx4 v36, v[14:17], s[18:19] offset:32
	global_store_dwordx4 v36, v[18:21], s[18:19] offset:48
	s_and_saveexec_b32 s5, s4
	s_cbranch_execz .LBB4_107
; %bb.100:                              ;   in Loop: Header=BB4_42 Depth=1
	s_clause 0x1
	global_load_dwordx2 v[14:15], v7, s[26:27] offset:32 glc dlc
	global_load_dwordx2 v[0:1], v7, s[26:27] offset:40
	v_mov_b32_e32 v12, s16
	v_mov_b32_e32 v13, s17
	s_waitcnt vmcnt(0)
	v_readfirstlane_b32 s18, v0
	v_readfirstlane_b32 s19, v1
	s_and_b64 s[18:19], s[18:19], s[16:17]
	s_mul_i32 s19, s19, 24
	s_mul_hi_u32 s22, s18, 24
	s_mul_i32 s18, s18, 24
	s_add_i32 s22, s22, s19
	v_add_co_u32 v10, vcc_lo, v22, s18
	v_add_co_ci_u32_e32 v11, vcc_lo, s22, v23, vcc_lo
	s_mov_b32 s18, exec_lo
	global_store_dwordx2 v[10:11], v[14:15], off
	s_waitcnt_vscnt null, 0x0
	global_atomic_cmpswap_x2 v[2:3], v7, v[12:15], s[26:27] offset:32 glc
	s_waitcnt vmcnt(0)
	v_cmpx_ne_u64_e64 v[2:3], v[14:15]
	s_cbranch_execz .LBB4_103
; %bb.101:                              ;   in Loop: Header=BB4_42 Depth=1
	s_mov_b32 s19, 0
.LBB4_102:                              ;   Parent Loop BB4_42 Depth=1
                                        ; =>  This Inner Loop Header: Depth=2
	v_mov_b32_e32 v0, s16
	v_mov_b32_e32 v1, s17
	s_sleep 1
	global_store_dwordx2 v[10:11], v[2:3], off
	s_waitcnt_vscnt null, 0x0
	global_atomic_cmpswap_x2 v[0:1], v7, v[0:3], s[26:27] offset:32 glc
	s_waitcnt vmcnt(0)
	v_cmp_eq_u64_e32 vcc_lo, v[0:1], v[2:3]
	v_mov_b32_e32 v3, v1
	v_mov_b32_e32 v2, v0
	s_or_b32 s19, vcc_lo, s19
	s_andn2_b32 exec_lo, exec_lo, s19
	s_cbranch_execnz .LBB4_102
.LBB4_103:                              ;   in Loop: Header=BB4_42 Depth=1
	s_or_b32 exec_lo, exec_lo, s18
	global_load_dwordx2 v[0:1], v7, s[26:27] offset:16
	s_mov_b32 s19, exec_lo
	s_mov_b32 s18, exec_lo
	v_mbcnt_lo_u32_b32 v2, s19, 0
	v_cmpx_eq_u32_e32 0, v2
	s_cbranch_execz .LBB4_105
; %bb.104:                              ;   in Loop: Header=BB4_42 Depth=1
	s_bcnt1_i32_b32 s19, s19
	v_mov_b32_e32 v6, s19
	s_waitcnt vmcnt(0)
	global_atomic_add_x2 v[0:1], v[6:7], off offset:8
.LBB4_105:                              ;   in Loop: Header=BB4_42 Depth=1
	s_or_b32 exec_lo, exec_lo, s18
	s_waitcnt vmcnt(0)
	global_load_dwordx2 v[2:3], v[0:1], off offset:16
	s_waitcnt vmcnt(0)
	v_cmp_eq_u64_e32 vcc_lo, 0, v[2:3]
	s_cbranch_vccnz .LBB4_107
; %bb.106:                              ;   in Loop: Header=BB4_42 Depth=1
	global_load_dword v6, v[0:1], off offset:24
	s_waitcnt vmcnt(0)
	v_and_b32_e32 v0, 0x7fffff, v6
	s_waitcnt_vscnt null, 0x0
	global_store_dwordx2 v[2:3], v[6:7], off
	v_readfirstlane_b32 m0, v0
	s_sendmsg sendmsg(MSG_INTERRUPT)
.LBB4_107:                              ;   in Loop: Header=BB4_42 Depth=1
	s_or_b32 exec_lo, exec_lo, s5
	v_add_co_u32 v0, vcc_lo, v24, v36
	v_add_co_ci_u32_e32 v1, vcc_lo, 0, v25, vcc_lo
	s_branch .LBB4_111
	.p2align	6
.LBB4_108:                              ;   in Loop: Header=BB4_111 Depth=2
	s_or_b32 exec_lo, exec_lo, s5
	v_readfirstlane_b32 s5, v2
	s_cmp_eq_u32 s5, 0
	s_cbranch_scc1 .LBB4_110
; %bb.109:                              ;   in Loop: Header=BB4_111 Depth=2
	s_sleep 1
	s_cbranch_execnz .LBB4_111
	s_branch .LBB4_113
	.p2align	6
.LBB4_110:                              ;   in Loop: Header=BB4_42 Depth=1
	s_branch .LBB4_113
.LBB4_111:                              ;   Parent Loop BB4_42 Depth=1
                                        ; =>  This Inner Loop Header: Depth=2
	v_mov_b32_e32 v2, 1
	s_and_saveexec_b32 s5, s4
	s_cbranch_execz .LBB4_108
; %bb.112:                              ;   in Loop: Header=BB4_111 Depth=2
	global_load_dword v2, v[26:27], off offset:20 glc dlc
	s_waitcnt vmcnt(0)
	buffer_gl1_inv
	buffer_gl0_inv
	v_and_b32_e32 v2, 1, v2
	s_branch .LBB4_108
.LBB4_113:                              ;   in Loop: Header=BB4_42 Depth=1
	global_load_dwordx4 v[0:3], v[0:1], off
	s_and_saveexec_b32 s5, s4
	s_cbranch_execz .LBB4_41
; %bb.114:                              ;   in Loop: Header=BB4_42 Depth=1
	s_clause 0x2
	global_load_dwordx2 v[2:3], v7, s[26:27] offset:40
	global_load_dwordx2 v[14:15], v7, s[26:27] offset:24 glc dlc
	global_load_dwordx2 v[12:13], v7, s[26:27]
	s_waitcnt vmcnt(2)
	v_add_co_u32 v6, vcc_lo, v2, 1
	v_add_co_ci_u32_e32 v16, vcc_lo, 0, v3, vcc_lo
	v_add_co_u32 v10, vcc_lo, v6, s16
	v_add_co_ci_u32_e32 v11, vcc_lo, s17, v16, vcc_lo
	v_cmp_eq_u64_e32 vcc_lo, 0, v[10:11]
	v_cndmask_b32_e32 v11, v11, v16, vcc_lo
	v_cndmask_b32_e32 v10, v10, v6, vcc_lo
	v_and_b32_e32 v3, v11, v3
	v_and_b32_e32 v2, v10, v2
	v_mul_lo_u32 v3, v3, 24
	v_mul_hi_u32 v6, v2, 24
	v_mul_lo_u32 v2, v2, 24
	v_add_nc_u32_e32 v3, v6, v3
	s_waitcnt vmcnt(0)
	v_add_co_u32 v2, vcc_lo, v12, v2
	v_mov_b32_e32 v12, v14
	v_add_co_ci_u32_e32 v3, vcc_lo, v13, v3, vcc_lo
	v_mov_b32_e32 v13, v15
	global_store_dwordx2 v[2:3], v[14:15], off
	s_waitcnt_vscnt null, 0x0
	global_atomic_cmpswap_x2 v[12:13], v7, v[10:13], s[26:27] offset:24 glc
	s_waitcnt vmcnt(0)
	v_cmp_ne_u64_e32 vcc_lo, v[12:13], v[14:15]
	s_and_b32 exec_lo, exec_lo, vcc_lo
	s_cbranch_execz .LBB4_41
; %bb.115:                              ;   in Loop: Header=BB4_42 Depth=1
	s_mov_b32 s4, 0
.LBB4_116:                              ;   Parent Loop BB4_42 Depth=1
                                        ; =>  This Inner Loop Header: Depth=2
	s_sleep 1
	global_store_dwordx2 v[2:3], v[12:13], off
	s_waitcnt_vscnt null, 0x0
	global_atomic_cmpswap_x2 v[14:15], v7, v[10:13], s[26:27] offset:24 glc
	s_waitcnt vmcnt(0)
	v_cmp_eq_u64_e32 vcc_lo, v[14:15], v[12:13]
	v_mov_b32_e32 v12, v14
	v_mov_b32_e32 v13, v15
	s_or_b32 s4, vcc_lo, s4
	s_andn2_b32 exec_lo, exec_lo, s4
	s_cbranch_execnz .LBB4_116
	s_branch .LBB4_41
.LBB4_117:
	s_branch .LBB4_146
.LBB4_118:
                                        ; implicit-def: $vgpr0_vgpr1
	s_cbranch_execz .LBB4_146
; %bb.119:
	v_readfirstlane_b32 s4, v37
	v_mov_b32_e32 v7, 0
	v_mov_b32_e32 v8, 0
	v_cmp_eq_u32_e64 s4, s4, v37
	s_and_saveexec_b32 s5, s4
	s_cbranch_execz .LBB4_125
; %bb.120:
	s_waitcnt vmcnt(0)
	v_mov_b32_e32 v0, 0
	s_mov_b32 s8, exec_lo
	global_load_dwordx2 v[9:10], v0, s[26:27] offset:24 glc dlc
	s_waitcnt vmcnt(0)
	buffer_gl1_inv
	buffer_gl0_inv
	s_clause 0x1
	global_load_dwordx2 v[1:2], v0, s[26:27] offset:40
	global_load_dwordx2 v[6:7], v0, s[26:27]
	s_waitcnt vmcnt(1)
	v_and_b32_e32 v2, v2, v10
	v_and_b32_e32 v1, v1, v9
	v_mul_lo_u32 v2, v2, 24
	v_mul_hi_u32 v3, v1, 24
	v_mul_lo_u32 v1, v1, 24
	v_add_nc_u32_e32 v2, v3, v2
	s_waitcnt vmcnt(0)
	v_add_co_u32 v1, vcc_lo, v6, v1
	v_add_co_ci_u32_e32 v2, vcc_lo, v7, v2, vcc_lo
	global_load_dwordx2 v[7:8], v[1:2], off glc dlc
	s_waitcnt vmcnt(0)
	global_atomic_cmpswap_x2 v[7:8], v0, v[7:10], s[26:27] offset:24 glc
	s_waitcnt vmcnt(0)
	buffer_gl1_inv
	buffer_gl0_inv
	v_cmpx_ne_u64_e64 v[7:8], v[9:10]
	s_cbranch_execz .LBB4_124
; %bb.121:
	s_mov_b32 s9, 0
.LBB4_122:                              ; =>This Inner Loop Header: Depth=1
	s_sleep 1
	s_clause 0x1
	global_load_dwordx2 v[1:2], v0, s[26:27] offset:40
	global_load_dwordx2 v[11:12], v0, s[26:27]
	v_mov_b32_e32 v10, v8
	v_mov_b32_e32 v9, v7
	s_waitcnt vmcnt(1)
	v_and_b32_e32 v1, v1, v9
	v_and_b32_e32 v2, v2, v10
	s_waitcnt vmcnt(0)
	v_mad_u64_u32 v[6:7], null, v1, 24, v[11:12]
	v_mov_b32_e32 v1, v7
	v_mad_u64_u32 v[1:2], null, v2, 24, v[1:2]
	v_mov_b32_e32 v7, v1
	global_load_dwordx2 v[7:8], v[6:7], off glc dlc
	s_waitcnt vmcnt(0)
	global_atomic_cmpswap_x2 v[7:8], v0, v[7:10], s[26:27] offset:24 glc
	s_waitcnt vmcnt(0)
	buffer_gl1_inv
	buffer_gl0_inv
	v_cmp_eq_u64_e32 vcc_lo, v[7:8], v[9:10]
	s_or_b32 s9, vcc_lo, s9
	s_andn2_b32 exec_lo, exec_lo, s9
	s_cbranch_execnz .LBB4_122
; %bb.123:
	s_or_b32 exec_lo, exec_lo, s9
.LBB4_124:
	s_or_b32 exec_lo, exec_lo, s8
.LBB4_125:
	s_or_b32 exec_lo, exec_lo, s5
	v_mov_b32_e32 v6, 0
	v_readfirstlane_b32 s8, v7
	v_readfirstlane_b32 s9, v8
	s_mov_b32 s5, exec_lo
	s_clause 0x1
	global_load_dwordx2 v[9:10], v6, s[26:27] offset:40
	global_load_dwordx4 v[0:3], v6, s[26:27]
	s_waitcnt vmcnt(1)
	v_readfirstlane_b32 s12, v9
	v_readfirstlane_b32 s13, v10
	s_and_b64 s[12:13], s[8:9], s[12:13]
	s_mul_i32 s14, s13, 24
	s_mul_hi_u32 s15, s12, 24
	s_mul_i32 s16, s12, 24
	s_add_i32 s15, s15, s14
	s_waitcnt vmcnt(0)
	v_add_co_u32 v8, vcc_lo, v0, s16
	v_add_co_ci_u32_e32 v9, vcc_lo, s15, v1, vcc_lo
	s_and_saveexec_b32 s14, s4
	s_cbranch_execz .LBB4_127
; %bb.126:
	v_mov_b32_e32 v10, s5
	v_mov_b32_e32 v11, v6
	;; [unrolled: 1-line block ×4, first 2 shown]
	global_store_dwordx4 v[8:9], v[10:13], off offset:8
.LBB4_127:
	s_or_b32 exec_lo, exec_lo, s14
	s_lshl_b64 s[12:13], s[12:13], 12
	v_and_or_b32 v4, 0xffffff1f, v4, 32
	v_add_co_u32 v2, vcc_lo, v2, s12
	v_add_co_ci_u32_e32 v3, vcc_lo, s13, v3, vcc_lo
	s_mov_b32 s12, 0
	v_add_co_u32 v10, vcc_lo, v2, v36
	s_mov_b32 s13, s12
	s_mov_b32 s14, s12
	;; [unrolled: 1-line block ×3, first 2 shown]
	v_mov_b32_e32 v7, v6
	v_readfirstlane_b32 s16, v2
	v_readfirstlane_b32 s17, v3
	v_mov_b32_e32 v12, s12
	v_add_co_ci_u32_e32 v11, vcc_lo, 0, v3, vcc_lo
	v_mov_b32_e32 v13, s13
	v_mov_b32_e32 v14, s14
	;; [unrolled: 1-line block ×3, first 2 shown]
	global_store_dwordx4 v36, v[4:7], s[16:17]
	global_store_dwordx4 v36, v[12:15], s[16:17] offset:16
	global_store_dwordx4 v36, v[12:15], s[16:17] offset:32
	;; [unrolled: 1-line block ×3, first 2 shown]
	s_and_saveexec_b32 s5, s4
	s_cbranch_execz .LBB4_135
; %bb.128:
	v_mov_b32_e32 v6, 0
	v_mov_b32_e32 v12, s8
	;; [unrolled: 1-line block ×3, first 2 shown]
	s_clause 0x1
	global_load_dwordx2 v[14:15], v6, s[26:27] offset:32 glc dlc
	global_load_dwordx2 v[2:3], v6, s[26:27] offset:40
	s_waitcnt vmcnt(0)
	v_readfirstlane_b32 s12, v2
	v_readfirstlane_b32 s13, v3
	s_and_b64 s[12:13], s[12:13], s[8:9]
	s_mul_i32 s13, s13, 24
	s_mul_hi_u32 s14, s12, 24
	s_mul_i32 s12, s12, 24
	s_add_i32 s14, s14, s13
	v_add_co_u32 v4, vcc_lo, v0, s12
	v_add_co_ci_u32_e32 v5, vcc_lo, s14, v1, vcc_lo
	s_mov_b32 s12, exec_lo
	global_store_dwordx2 v[4:5], v[14:15], off
	s_waitcnt_vscnt null, 0x0
	global_atomic_cmpswap_x2 v[2:3], v6, v[12:15], s[26:27] offset:32 glc
	s_waitcnt vmcnt(0)
	v_cmpx_ne_u64_e64 v[2:3], v[14:15]
	s_cbranch_execz .LBB4_131
; %bb.129:
	s_mov_b32 s13, 0
.LBB4_130:                              ; =>This Inner Loop Header: Depth=1
	v_mov_b32_e32 v0, s8
	v_mov_b32_e32 v1, s9
	s_sleep 1
	global_store_dwordx2 v[4:5], v[2:3], off
	s_waitcnt_vscnt null, 0x0
	global_atomic_cmpswap_x2 v[0:1], v6, v[0:3], s[26:27] offset:32 glc
	s_waitcnt vmcnt(0)
	v_cmp_eq_u64_e32 vcc_lo, v[0:1], v[2:3]
	v_mov_b32_e32 v3, v1
	v_mov_b32_e32 v2, v0
	s_or_b32 s13, vcc_lo, s13
	s_andn2_b32 exec_lo, exec_lo, s13
	s_cbranch_execnz .LBB4_130
.LBB4_131:
	s_or_b32 exec_lo, exec_lo, s12
	v_mov_b32_e32 v3, 0
	s_mov_b32 s13, exec_lo
	s_mov_b32 s12, exec_lo
	v_mbcnt_lo_u32_b32 v2, s13, 0
	global_load_dwordx2 v[0:1], v3, s[26:27] offset:16
	v_cmpx_eq_u32_e32 0, v2
	s_cbranch_execz .LBB4_133
; %bb.132:
	s_bcnt1_i32_b32 s13, s13
	v_mov_b32_e32 v2, s13
	s_waitcnt vmcnt(0)
	global_atomic_add_x2 v[0:1], v[2:3], off offset:8
.LBB4_133:
	s_or_b32 exec_lo, exec_lo, s12
	s_waitcnt vmcnt(0)
	global_load_dwordx2 v[2:3], v[0:1], off offset:16
	s_waitcnt vmcnt(0)
	v_cmp_eq_u64_e32 vcc_lo, 0, v[2:3]
	s_cbranch_vccnz .LBB4_135
; %bb.134:
	global_load_dword v0, v[0:1], off offset:24
	v_mov_b32_e32 v1, 0
	s_waitcnt vmcnt(0)
	v_and_b32_e32 v4, 0x7fffff, v0
	s_waitcnt_vscnt null, 0x0
	global_store_dwordx2 v[2:3], v[0:1], off
	v_readfirstlane_b32 m0, v4
	s_sendmsg sendmsg(MSG_INTERRUPT)
.LBB4_135:
	s_or_b32 exec_lo, exec_lo, s5
	s_branch .LBB4_139
	.p2align	6
.LBB4_136:                              ;   in Loop: Header=BB4_139 Depth=1
	s_or_b32 exec_lo, exec_lo, s5
	v_readfirstlane_b32 s5, v0
	s_cmp_eq_u32 s5, 0
	s_cbranch_scc1 .LBB4_138
; %bb.137:                              ;   in Loop: Header=BB4_139 Depth=1
	s_sleep 1
	s_cbranch_execnz .LBB4_139
	s_branch .LBB4_141
	.p2align	6
.LBB4_138:
	s_branch .LBB4_141
.LBB4_139:                              ; =>This Inner Loop Header: Depth=1
	v_mov_b32_e32 v0, 1
	s_and_saveexec_b32 s5, s4
	s_cbranch_execz .LBB4_136
; %bb.140:                              ;   in Loop: Header=BB4_139 Depth=1
	global_load_dword v0, v[8:9], off offset:20 glc dlc
	s_waitcnt vmcnt(0)
	buffer_gl1_inv
	buffer_gl0_inv
	v_and_b32_e32 v0, 1, v0
	s_branch .LBB4_136
.LBB4_141:
	global_load_dwordx2 v[0:1], v[10:11], off
	s_and_saveexec_b32 s5, s4
	s_cbranch_execz .LBB4_145
; %bb.142:
	v_mov_b32_e32 v8, 0
	s_clause 0x2
	global_load_dwordx2 v[4:5], v8, s[26:27] offset:40
	global_load_dwordx2 v[9:10], v8, s[26:27] offset:24 glc dlc
	global_load_dwordx2 v[6:7], v8, s[26:27]
	s_waitcnt vmcnt(2)
	v_add_co_u32 v11, vcc_lo, v4, 1
	v_add_co_ci_u32_e32 v12, vcc_lo, 0, v5, vcc_lo
	v_add_co_u32 v2, vcc_lo, v11, s8
	v_add_co_ci_u32_e32 v3, vcc_lo, s9, v12, vcc_lo
	v_cmp_eq_u64_e32 vcc_lo, 0, v[2:3]
	v_cndmask_b32_e32 v3, v3, v12, vcc_lo
	v_cndmask_b32_e32 v2, v2, v11, vcc_lo
	v_and_b32_e32 v5, v3, v5
	v_and_b32_e32 v4, v2, v4
	v_mul_lo_u32 v5, v5, 24
	v_mul_hi_u32 v11, v4, 24
	v_mul_lo_u32 v4, v4, 24
	v_add_nc_u32_e32 v5, v11, v5
	s_waitcnt vmcnt(0)
	v_add_co_u32 v6, vcc_lo, v6, v4
	v_mov_b32_e32 v4, v9
	v_add_co_ci_u32_e32 v7, vcc_lo, v7, v5, vcc_lo
	v_mov_b32_e32 v5, v10
	global_store_dwordx2 v[6:7], v[9:10], off
	s_waitcnt_vscnt null, 0x0
	global_atomic_cmpswap_x2 v[4:5], v8, v[2:5], s[26:27] offset:24 glc
	s_waitcnt vmcnt(0)
	v_cmp_ne_u64_e32 vcc_lo, v[4:5], v[9:10]
	s_and_b32 exec_lo, exec_lo, vcc_lo
	s_cbranch_execz .LBB4_145
; %bb.143:
	s_mov_b32 s4, 0
.LBB4_144:                              ; =>This Inner Loop Header: Depth=1
	s_sleep 1
	global_store_dwordx2 v[6:7], v[4:5], off
	s_waitcnt_vscnt null, 0x0
	global_atomic_cmpswap_x2 v[9:10], v8, v[2:5], s[26:27] offset:24 glc
	s_waitcnt vmcnt(0)
	v_cmp_eq_u64_e32 vcc_lo, v[9:10], v[4:5]
	v_mov_b32_e32 v4, v9
	v_mov_b32_e32 v5, v10
	s_or_b32 s4, vcc_lo, s4
	s_andn2_b32 exec_lo, exec_lo, s4
	s_cbranch_execnz .LBB4_144
.LBB4_145:
	s_or_b32 exec_lo, exec_lo, s5
.LBB4_146:
	s_getpc_b64 s[8:9]
	s_add_u32 s8, s8, __PRETTY_FUNCTION__._ZL11equal_falseRN8migraphx4test12test_managerE@rel32@lo+4
	s_addc_u32 s9, s9, __PRETTY_FUNCTION__._ZL11equal_falseRN8migraphx4test12test_managerE@rel32@hi+12
	s_cmp_lg_u64 s[8:9], 0
	s_cbranch_scc0 .LBB4_225
; %bb.147:
	s_waitcnt vmcnt(0)
	v_and_b32_e32 v6, -3, v0
	v_mov_b32_e32 v7, v1
	v_mov_b32_e32 v3, 0
	;; [unrolled: 1-line block ×4, first 2 shown]
	s_mov_b64 s[12:13], 49
	s_branch .LBB4_149
.LBB4_148:                              ;   in Loop: Header=BB4_149 Depth=1
	s_or_b32 exec_lo, exec_lo, s5
	s_sub_u32 s12, s12, s14
	s_subb_u32 s13, s13, s15
	s_add_u32 s8, s8, s14
	s_addc_u32 s9, s9, s15
	s_cmp_lg_u64 s[12:13], 0
	s_cbranch_scc0 .LBB4_224
.LBB4_149:                              ; =>This Loop Header: Depth=1
                                        ;     Child Loop BB4_158 Depth 2
                                        ;     Child Loop BB4_154 Depth 2
	;; [unrolled: 1-line block ×11, first 2 shown]
	v_cmp_lt_u64_e64 s4, s[12:13], 56
	v_cmp_gt_u64_e64 s5, s[12:13], 7
                                        ; implicit-def: $sgpr22
	s_and_b32 s4, s4, exec_lo
	s_cselect_b32 s15, s13, 0
	s_cselect_b32 s14, s12, 56
	s_and_b32 vcc_lo, exec_lo, s5
	s_mov_b32 s4, -1
	s_cbranch_vccz .LBB4_156
; %bb.150:                              ;   in Loop: Header=BB4_149 Depth=1
	s_andn2_b32 vcc_lo, exec_lo, s4
	s_mov_b64 s[4:5], s[8:9]
	s_cbranch_vccz .LBB4_160
.LBB4_151:                              ;   in Loop: Header=BB4_149 Depth=1
	s_cmp_gt_u32 s22, 7
	s_cbranch_scc1 .LBB4_161
.LBB4_152:                              ;   in Loop: Header=BB4_149 Depth=1
	v_mov_b32_e32 v10, 0
	v_mov_b32_e32 v11, 0
	s_cmp_eq_u32 s22, 0
	s_cbranch_scc1 .LBB4_155
; %bb.153:                              ;   in Loop: Header=BB4_149 Depth=1
	s_mov_b64 s[16:17], 0
	s_mov_b64 s[18:19], 0
.LBB4_154:                              ;   Parent Loop BB4_149 Depth=1
                                        ; =>  This Inner Loop Header: Depth=2
	s_add_u32 s24, s4, s18
	s_addc_u32 s25, s5, s19
	s_add_u32 s18, s18, 1
	global_load_ubyte v2, v3, s[24:25]
	s_addc_u32 s19, s19, 0
	s_waitcnt vmcnt(0)
	v_and_b32_e32 v2, 0xffff, v2
	v_lshlrev_b64 v[12:13], s16, v[2:3]
	s_add_u32 s16, s16, 8
	s_addc_u32 s17, s17, 0
	s_cmp_lg_u32 s22, s18
	v_or_b32_e32 v10, v12, v10
	v_or_b32_e32 v11, v13, v11
	s_cbranch_scc1 .LBB4_154
.LBB4_155:                              ;   in Loop: Header=BB4_149 Depth=1
	s_mov_b32 s23, 0
	s_cbranch_execz .LBB4_162
	s_branch .LBB4_163
.LBB4_156:                              ;   in Loop: Header=BB4_149 Depth=1
	s_waitcnt vmcnt(0)
	v_mov_b32_e32 v8, 0
	v_mov_b32_e32 v9, 0
	s_cmp_eq_u64 s[12:13], 0
	s_mov_b64 s[4:5], 0
	s_cbranch_scc1 .LBB4_159
; %bb.157:                              ;   in Loop: Header=BB4_149 Depth=1
	v_mov_b32_e32 v8, 0
	v_mov_b32_e32 v9, 0
	s_lshl_b64 s[16:17], s[14:15], 3
	s_mov_b64 s[18:19], s[8:9]
.LBB4_158:                              ;   Parent Loop BB4_149 Depth=1
                                        ; =>  This Inner Loop Header: Depth=2
	global_load_ubyte v2, v3, s[18:19]
	s_waitcnt vmcnt(0)
	v_and_b32_e32 v2, 0xffff, v2
	v_lshlrev_b64 v[10:11], s4, v[2:3]
	s_add_u32 s4, s4, 8
	s_addc_u32 s5, s5, 0
	s_add_u32 s18, s18, 1
	s_addc_u32 s19, s19, 0
	s_cmp_lg_u32 s16, s4
	v_or_b32_e32 v8, v10, v8
	v_or_b32_e32 v9, v11, v9
	s_cbranch_scc1 .LBB4_158
.LBB4_159:                              ;   in Loop: Header=BB4_149 Depth=1
	s_mov_b32 s22, 0
	s_mov_b64 s[4:5], s[8:9]
	s_cbranch_execnz .LBB4_151
.LBB4_160:                              ;   in Loop: Header=BB4_149 Depth=1
	global_load_dwordx2 v[8:9], v3, s[8:9]
	s_add_i32 s22, s14, -8
	s_add_u32 s4, s8, 8
	s_addc_u32 s5, s9, 0
	s_cmp_gt_u32 s22, 7
	s_cbranch_scc0 .LBB4_152
.LBB4_161:                              ;   in Loop: Header=BB4_149 Depth=1
                                        ; implicit-def: $vgpr10_vgpr11
                                        ; implicit-def: $sgpr23
.LBB4_162:                              ;   in Loop: Header=BB4_149 Depth=1
	global_load_dwordx2 v[10:11], v3, s[4:5]
	s_add_i32 s23, s22, -8
	s_add_u32 s4, s4, 8
	s_addc_u32 s5, s5, 0
.LBB4_163:                              ;   in Loop: Header=BB4_149 Depth=1
	s_cmp_gt_u32 s23, 7
	s_cbranch_scc1 .LBB4_168
; %bb.164:                              ;   in Loop: Header=BB4_149 Depth=1
	v_mov_b32_e32 v12, 0
	v_mov_b32_e32 v13, 0
	s_cmp_eq_u32 s23, 0
	s_cbranch_scc1 .LBB4_167
; %bb.165:                              ;   in Loop: Header=BB4_149 Depth=1
	s_mov_b64 s[16:17], 0
	s_mov_b64 s[18:19], 0
.LBB4_166:                              ;   Parent Loop BB4_149 Depth=1
                                        ; =>  This Inner Loop Header: Depth=2
	s_add_u32 s24, s4, s18
	s_addc_u32 s25, s5, s19
	s_add_u32 s18, s18, 1
	global_load_ubyte v2, v3, s[24:25]
	s_addc_u32 s19, s19, 0
	s_waitcnt vmcnt(0)
	v_and_b32_e32 v2, 0xffff, v2
	v_lshlrev_b64 v[14:15], s16, v[2:3]
	s_add_u32 s16, s16, 8
	s_addc_u32 s17, s17, 0
	s_cmp_lg_u32 s23, s18
	v_or_b32_e32 v12, v14, v12
	v_or_b32_e32 v13, v15, v13
	s_cbranch_scc1 .LBB4_166
.LBB4_167:                              ;   in Loop: Header=BB4_149 Depth=1
	s_mov_b32 s22, 0
	s_cbranch_execz .LBB4_169
	s_branch .LBB4_170
.LBB4_168:                              ;   in Loop: Header=BB4_149 Depth=1
                                        ; implicit-def: $sgpr22
.LBB4_169:                              ;   in Loop: Header=BB4_149 Depth=1
	global_load_dwordx2 v[12:13], v3, s[4:5]
	s_add_i32 s22, s23, -8
	s_add_u32 s4, s4, 8
	s_addc_u32 s5, s5, 0
.LBB4_170:                              ;   in Loop: Header=BB4_149 Depth=1
	s_cmp_gt_u32 s22, 7
	s_cbranch_scc1 .LBB4_175
; %bb.171:                              ;   in Loop: Header=BB4_149 Depth=1
	v_mov_b32_e32 v14, 0
	v_mov_b32_e32 v15, 0
	s_cmp_eq_u32 s22, 0
	s_cbranch_scc1 .LBB4_174
; %bb.172:                              ;   in Loop: Header=BB4_149 Depth=1
	s_mov_b64 s[16:17], 0
	s_mov_b64 s[18:19], 0
.LBB4_173:                              ;   Parent Loop BB4_149 Depth=1
                                        ; =>  This Inner Loop Header: Depth=2
	s_add_u32 s24, s4, s18
	s_addc_u32 s25, s5, s19
	s_add_u32 s18, s18, 1
	global_load_ubyte v2, v3, s[24:25]
	s_addc_u32 s19, s19, 0
	s_waitcnt vmcnt(0)
	v_and_b32_e32 v2, 0xffff, v2
	v_lshlrev_b64 v[16:17], s16, v[2:3]
	s_add_u32 s16, s16, 8
	s_addc_u32 s17, s17, 0
	s_cmp_lg_u32 s22, s18
	v_or_b32_e32 v14, v16, v14
	v_or_b32_e32 v15, v17, v15
	s_cbranch_scc1 .LBB4_173
.LBB4_174:                              ;   in Loop: Header=BB4_149 Depth=1
	s_mov_b32 s23, 0
	s_cbranch_execz .LBB4_176
	s_branch .LBB4_177
.LBB4_175:                              ;   in Loop: Header=BB4_149 Depth=1
                                        ; implicit-def: $vgpr14_vgpr15
                                        ; implicit-def: $sgpr23
.LBB4_176:                              ;   in Loop: Header=BB4_149 Depth=1
	global_load_dwordx2 v[14:15], v3, s[4:5]
	s_add_i32 s23, s22, -8
	s_add_u32 s4, s4, 8
	s_addc_u32 s5, s5, 0
.LBB4_177:                              ;   in Loop: Header=BB4_149 Depth=1
	s_cmp_gt_u32 s23, 7
	s_cbranch_scc1 .LBB4_182
; %bb.178:                              ;   in Loop: Header=BB4_149 Depth=1
	v_mov_b32_e32 v16, 0
	v_mov_b32_e32 v17, 0
	s_cmp_eq_u32 s23, 0
	s_cbranch_scc1 .LBB4_181
; %bb.179:                              ;   in Loop: Header=BB4_149 Depth=1
	s_mov_b64 s[16:17], 0
	s_mov_b64 s[18:19], 0
.LBB4_180:                              ;   Parent Loop BB4_149 Depth=1
                                        ; =>  This Inner Loop Header: Depth=2
	s_add_u32 s24, s4, s18
	s_addc_u32 s25, s5, s19
	s_add_u32 s18, s18, 1
	global_load_ubyte v2, v3, s[24:25]
	s_addc_u32 s19, s19, 0
	s_waitcnt vmcnt(0)
	v_and_b32_e32 v2, 0xffff, v2
	v_lshlrev_b64 v[18:19], s16, v[2:3]
	s_add_u32 s16, s16, 8
	s_addc_u32 s17, s17, 0
	s_cmp_lg_u32 s23, s18
	v_or_b32_e32 v16, v18, v16
	v_or_b32_e32 v17, v19, v17
	s_cbranch_scc1 .LBB4_180
.LBB4_181:                              ;   in Loop: Header=BB4_149 Depth=1
	s_mov_b32 s22, 0
	s_cbranch_execz .LBB4_183
	s_branch .LBB4_184
.LBB4_182:                              ;   in Loop: Header=BB4_149 Depth=1
                                        ; implicit-def: $sgpr22
.LBB4_183:                              ;   in Loop: Header=BB4_149 Depth=1
	global_load_dwordx2 v[16:17], v3, s[4:5]
	s_add_i32 s22, s23, -8
	s_add_u32 s4, s4, 8
	s_addc_u32 s5, s5, 0
.LBB4_184:                              ;   in Loop: Header=BB4_149 Depth=1
	s_cmp_gt_u32 s22, 7
	s_cbranch_scc1 .LBB4_189
; %bb.185:                              ;   in Loop: Header=BB4_149 Depth=1
	v_mov_b32_e32 v18, 0
	v_mov_b32_e32 v19, 0
	s_cmp_eq_u32 s22, 0
	s_cbranch_scc1 .LBB4_188
; %bb.186:                              ;   in Loop: Header=BB4_149 Depth=1
	s_mov_b64 s[16:17], 0
	s_mov_b64 s[18:19], 0
.LBB4_187:                              ;   Parent Loop BB4_149 Depth=1
                                        ; =>  This Inner Loop Header: Depth=2
	s_add_u32 s24, s4, s18
	s_addc_u32 s25, s5, s19
	s_add_u32 s18, s18, 1
	global_load_ubyte v2, v3, s[24:25]
	s_addc_u32 s19, s19, 0
	s_waitcnt vmcnt(0)
	v_and_b32_e32 v2, 0xffff, v2
	v_lshlrev_b64 v[20:21], s16, v[2:3]
	s_add_u32 s16, s16, 8
	s_addc_u32 s17, s17, 0
	s_cmp_lg_u32 s22, s18
	v_or_b32_e32 v18, v20, v18
	v_or_b32_e32 v19, v21, v19
	s_cbranch_scc1 .LBB4_187
.LBB4_188:                              ;   in Loop: Header=BB4_149 Depth=1
	s_mov_b32 s23, 0
	s_cbranch_execz .LBB4_190
	s_branch .LBB4_191
.LBB4_189:                              ;   in Loop: Header=BB4_149 Depth=1
                                        ; implicit-def: $vgpr18_vgpr19
                                        ; implicit-def: $sgpr23
.LBB4_190:                              ;   in Loop: Header=BB4_149 Depth=1
	global_load_dwordx2 v[18:19], v3, s[4:5]
	s_add_i32 s23, s22, -8
	s_add_u32 s4, s4, 8
	s_addc_u32 s5, s5, 0
.LBB4_191:                              ;   in Loop: Header=BB4_149 Depth=1
	s_cmp_gt_u32 s23, 7
	s_cbranch_scc1 .LBB4_196
; %bb.192:                              ;   in Loop: Header=BB4_149 Depth=1
	v_mov_b32_e32 v20, 0
	v_mov_b32_e32 v21, 0
	s_cmp_eq_u32 s23, 0
	s_cbranch_scc1 .LBB4_195
; %bb.193:                              ;   in Loop: Header=BB4_149 Depth=1
	s_mov_b64 s[16:17], 0
	s_mov_b64 s[18:19], s[4:5]
.LBB4_194:                              ;   Parent Loop BB4_149 Depth=1
                                        ; =>  This Inner Loop Header: Depth=2
	global_load_ubyte v2, v3, s[18:19]
	s_add_i32 s23, s23, -1
	s_waitcnt vmcnt(0)
	v_and_b32_e32 v2, 0xffff, v2
	v_lshlrev_b64 v[22:23], s16, v[2:3]
	s_add_u32 s16, s16, 8
	s_addc_u32 s17, s17, 0
	s_add_u32 s18, s18, 1
	s_addc_u32 s19, s19, 0
	s_cmp_lg_u32 s23, 0
	v_or_b32_e32 v20, v22, v20
	v_or_b32_e32 v21, v23, v21
	s_cbranch_scc1 .LBB4_194
.LBB4_195:                              ;   in Loop: Header=BB4_149 Depth=1
	s_cbranch_execz .LBB4_197
	s_branch .LBB4_198
.LBB4_196:                              ;   in Loop: Header=BB4_149 Depth=1
.LBB4_197:                              ;   in Loop: Header=BB4_149 Depth=1
	global_load_dwordx2 v[20:21], v3, s[4:5]
.LBB4_198:                              ;   in Loop: Header=BB4_149 Depth=1
	v_readfirstlane_b32 s4, v37
	v_mov_b32_e32 v26, 0
	v_mov_b32_e32 v27, 0
	v_cmp_eq_u32_e64 s4, s4, v37
	s_and_saveexec_b32 s5, s4
	s_cbranch_execz .LBB4_204
; %bb.199:                              ;   in Loop: Header=BB4_149 Depth=1
	global_load_dwordx2 v[24:25], v3, s[26:27] offset:24 glc dlc
	s_waitcnt vmcnt(0)
	buffer_gl1_inv
	buffer_gl0_inv
	s_clause 0x1
	global_load_dwordx2 v[22:23], v3, s[26:27] offset:40
	global_load_dwordx2 v[26:27], v3, s[26:27]
	s_mov_b32 s16, exec_lo
	s_waitcnt vmcnt(1)
	v_and_b32_e32 v2, v23, v25
	v_and_b32_e32 v22, v22, v24
	v_mul_lo_u32 v2, v2, 24
	v_mul_hi_u32 v23, v22, 24
	v_mul_lo_u32 v22, v22, 24
	v_add_nc_u32_e32 v2, v23, v2
	s_waitcnt vmcnt(0)
	v_add_co_u32 v22, vcc_lo, v26, v22
	v_add_co_ci_u32_e32 v23, vcc_lo, v27, v2, vcc_lo
	global_load_dwordx2 v[22:23], v[22:23], off glc dlc
	s_waitcnt vmcnt(0)
	global_atomic_cmpswap_x2 v[26:27], v3, v[22:25], s[26:27] offset:24 glc
	s_waitcnt vmcnt(0)
	buffer_gl1_inv
	buffer_gl0_inv
	v_cmpx_ne_u64_e64 v[26:27], v[24:25]
	s_cbranch_execz .LBB4_203
; %bb.200:                              ;   in Loop: Header=BB4_149 Depth=1
	s_mov_b32 s17, 0
	.p2align	6
.LBB4_201:                              ;   Parent Loop BB4_149 Depth=1
                                        ; =>  This Inner Loop Header: Depth=2
	s_sleep 1
	s_clause 0x1
	global_load_dwordx2 v[22:23], v3, s[26:27] offset:40
	global_load_dwordx2 v[28:29], v3, s[26:27]
	v_mov_b32_e32 v24, v26
	v_mov_b32_e32 v25, v27
	s_waitcnt vmcnt(1)
	v_and_b32_e32 v2, v22, v24
	v_and_b32_e32 v22, v23, v25
	s_waitcnt vmcnt(0)
	v_mad_u64_u32 v[26:27], null, v2, 24, v[28:29]
	v_mov_b32_e32 v2, v27
	v_mad_u64_u32 v[22:23], null, v22, 24, v[2:3]
	v_mov_b32_e32 v27, v22
	global_load_dwordx2 v[22:23], v[26:27], off glc dlc
	s_waitcnt vmcnt(0)
	global_atomic_cmpswap_x2 v[26:27], v3, v[22:25], s[26:27] offset:24 glc
	s_waitcnt vmcnt(0)
	buffer_gl1_inv
	buffer_gl0_inv
	v_cmp_eq_u64_e32 vcc_lo, v[26:27], v[24:25]
	s_or_b32 s17, vcc_lo, s17
	s_andn2_b32 exec_lo, exec_lo, s17
	s_cbranch_execnz .LBB4_201
; %bb.202:                              ;   in Loop: Header=BB4_149 Depth=1
	s_or_b32 exec_lo, exec_lo, s17
.LBB4_203:                              ;   in Loop: Header=BB4_149 Depth=1
	s_or_b32 exec_lo, exec_lo, s16
.LBB4_204:                              ;   in Loop: Header=BB4_149 Depth=1
	s_or_b32 exec_lo, exec_lo, s5
	s_clause 0x1
	global_load_dwordx2 v[28:29], v3, s[26:27] offset:40
	global_load_dwordx4 v[22:25], v3, s[26:27]
	v_readfirstlane_b32 s16, v26
	v_readfirstlane_b32 s17, v27
	s_mov_b32 s5, exec_lo
	s_waitcnt vmcnt(1)
	v_readfirstlane_b32 s18, v28
	v_readfirstlane_b32 s19, v29
	s_and_b64 s[18:19], s[16:17], s[18:19]
	s_mul_i32 s22, s19, 24
	s_mul_hi_u32 s23, s18, 24
	s_mul_i32 s24, s18, 24
	s_add_i32 s23, s23, s22
	s_waitcnt vmcnt(0)
	v_add_co_u32 v26, vcc_lo, v22, s24
	v_add_co_ci_u32_e32 v27, vcc_lo, s23, v23, vcc_lo
	s_and_saveexec_b32 s22, s4
	s_cbranch_execz .LBB4_206
; %bb.205:                              ;   in Loop: Header=BB4_149 Depth=1
	v_mov_b32_e32 v2, s5
	global_store_dwordx4 v[26:27], v[2:5], off offset:8
.LBB4_206:                              ;   in Loop: Header=BB4_149 Depth=1
	s_or_b32 exec_lo, exec_lo, s22
	s_lshl_b64 s[18:19], s[18:19], 12
	v_or_b32_e32 v2, 2, v6
	v_add_co_u32 v24, vcc_lo, v24, s18
	v_add_co_ci_u32_e32 v25, vcc_lo, s19, v25, vcc_lo
	v_cmp_gt_u64_e64 vcc_lo, s[12:13], 56
	s_lshl_b32 s5, s14, 2
	v_readfirstlane_b32 s18, v24
	s_add_i32 s5, s5, 28
	v_readfirstlane_b32 s19, v25
	s_and_b32 s5, s5, 0x1e0
	v_cndmask_b32_e32 v2, v2, v6, vcc_lo
	v_and_or_b32 v6, 0xffffff1f, v2, s5
	global_store_dwordx4 v36, v[10:13], s[18:19] offset:16
	global_store_dwordx4 v36, v[6:9], s[18:19]
	global_store_dwordx4 v36, v[14:17], s[18:19] offset:32
	global_store_dwordx4 v36, v[18:21], s[18:19] offset:48
	s_and_saveexec_b32 s5, s4
	s_cbranch_execz .LBB4_214
; %bb.207:                              ;   in Loop: Header=BB4_149 Depth=1
	s_clause 0x1
	global_load_dwordx2 v[14:15], v3, s[26:27] offset:32 glc dlc
	global_load_dwordx2 v[6:7], v3, s[26:27] offset:40
	v_mov_b32_e32 v12, s16
	v_mov_b32_e32 v13, s17
	s_waitcnt vmcnt(0)
	v_readfirstlane_b32 s18, v6
	v_readfirstlane_b32 s19, v7
	s_and_b64 s[18:19], s[18:19], s[16:17]
	s_mul_i32 s19, s19, 24
	s_mul_hi_u32 s22, s18, 24
	s_mul_i32 s18, s18, 24
	s_add_i32 s22, s22, s19
	v_add_co_u32 v10, vcc_lo, v22, s18
	v_add_co_ci_u32_e32 v11, vcc_lo, s22, v23, vcc_lo
	s_mov_b32 s18, exec_lo
	global_store_dwordx2 v[10:11], v[14:15], off
	s_waitcnt_vscnt null, 0x0
	global_atomic_cmpswap_x2 v[8:9], v3, v[12:15], s[26:27] offset:32 glc
	s_waitcnt vmcnt(0)
	v_cmpx_ne_u64_e64 v[8:9], v[14:15]
	s_cbranch_execz .LBB4_210
; %bb.208:                              ;   in Loop: Header=BB4_149 Depth=1
	s_mov_b32 s19, 0
.LBB4_209:                              ;   Parent Loop BB4_149 Depth=1
                                        ; =>  This Inner Loop Header: Depth=2
	v_mov_b32_e32 v6, s16
	v_mov_b32_e32 v7, s17
	s_sleep 1
	global_store_dwordx2 v[10:11], v[8:9], off
	s_waitcnt_vscnt null, 0x0
	global_atomic_cmpswap_x2 v[6:7], v3, v[6:9], s[26:27] offset:32 glc
	s_waitcnt vmcnt(0)
	v_cmp_eq_u64_e32 vcc_lo, v[6:7], v[8:9]
	v_mov_b32_e32 v9, v7
	v_mov_b32_e32 v8, v6
	s_or_b32 s19, vcc_lo, s19
	s_andn2_b32 exec_lo, exec_lo, s19
	s_cbranch_execnz .LBB4_209
.LBB4_210:                              ;   in Loop: Header=BB4_149 Depth=1
	s_or_b32 exec_lo, exec_lo, s18
	global_load_dwordx2 v[6:7], v3, s[26:27] offset:16
	s_mov_b32 s19, exec_lo
	s_mov_b32 s18, exec_lo
	v_mbcnt_lo_u32_b32 v2, s19, 0
	v_cmpx_eq_u32_e32 0, v2
	s_cbranch_execz .LBB4_212
; %bb.211:                              ;   in Loop: Header=BB4_149 Depth=1
	s_bcnt1_i32_b32 s19, s19
	v_mov_b32_e32 v2, s19
	s_waitcnt vmcnt(0)
	global_atomic_add_x2 v[6:7], v[2:3], off offset:8
.LBB4_212:                              ;   in Loop: Header=BB4_149 Depth=1
	s_or_b32 exec_lo, exec_lo, s18
	s_waitcnt vmcnt(0)
	global_load_dwordx2 v[8:9], v[6:7], off offset:16
	s_waitcnt vmcnt(0)
	v_cmp_eq_u64_e32 vcc_lo, 0, v[8:9]
	s_cbranch_vccnz .LBB4_214
; %bb.213:                              ;   in Loop: Header=BB4_149 Depth=1
	global_load_dword v2, v[6:7], off offset:24
	s_waitcnt vmcnt(0)
	v_and_b32_e32 v6, 0x7fffff, v2
	s_waitcnt_vscnt null, 0x0
	global_store_dwordx2 v[8:9], v[2:3], off
	v_readfirstlane_b32 m0, v6
	s_sendmsg sendmsg(MSG_INTERRUPT)
.LBB4_214:                              ;   in Loop: Header=BB4_149 Depth=1
	s_or_b32 exec_lo, exec_lo, s5
	v_add_co_u32 v6, vcc_lo, v24, v36
	v_add_co_ci_u32_e32 v7, vcc_lo, 0, v25, vcc_lo
	s_branch .LBB4_218
	.p2align	6
.LBB4_215:                              ;   in Loop: Header=BB4_218 Depth=2
	s_or_b32 exec_lo, exec_lo, s5
	v_readfirstlane_b32 s5, v2
	s_cmp_eq_u32 s5, 0
	s_cbranch_scc1 .LBB4_217
; %bb.216:                              ;   in Loop: Header=BB4_218 Depth=2
	s_sleep 1
	s_cbranch_execnz .LBB4_218
	s_branch .LBB4_220
	.p2align	6
.LBB4_217:                              ;   in Loop: Header=BB4_149 Depth=1
	s_branch .LBB4_220
.LBB4_218:                              ;   Parent Loop BB4_149 Depth=1
                                        ; =>  This Inner Loop Header: Depth=2
	v_mov_b32_e32 v2, 1
	s_and_saveexec_b32 s5, s4
	s_cbranch_execz .LBB4_215
; %bb.219:                              ;   in Loop: Header=BB4_218 Depth=2
	global_load_dword v2, v[26:27], off offset:20 glc dlc
	s_waitcnt vmcnt(0)
	buffer_gl1_inv
	buffer_gl0_inv
	v_and_b32_e32 v2, 1, v2
	s_branch .LBB4_215
.LBB4_220:                              ;   in Loop: Header=BB4_149 Depth=1
	global_load_dwordx4 v[6:9], v[6:7], off
	s_and_saveexec_b32 s5, s4
	s_cbranch_execz .LBB4_148
; %bb.221:                              ;   in Loop: Header=BB4_149 Depth=1
	s_clause 0x2
	global_load_dwordx2 v[10:11], v3, s[26:27] offset:40
	global_load_dwordx2 v[14:15], v3, s[26:27] offset:24 glc dlc
	global_load_dwordx2 v[12:13], v3, s[26:27]
	s_waitcnt vmcnt(2)
	v_add_co_u32 v2, vcc_lo, v10, 1
	v_add_co_ci_u32_e32 v16, vcc_lo, 0, v11, vcc_lo
	v_add_co_u32 v8, vcc_lo, v2, s16
	v_add_co_ci_u32_e32 v9, vcc_lo, s17, v16, vcc_lo
	v_cmp_eq_u64_e32 vcc_lo, 0, v[8:9]
	v_cndmask_b32_e32 v9, v9, v16, vcc_lo
	v_cndmask_b32_e32 v8, v8, v2, vcc_lo
	v_and_b32_e32 v2, v9, v11
	v_and_b32_e32 v10, v8, v10
	v_mul_lo_u32 v2, v2, 24
	v_mul_hi_u32 v11, v10, 24
	v_mul_lo_u32 v10, v10, 24
	v_add_nc_u32_e32 v2, v11, v2
	s_waitcnt vmcnt(0)
	v_add_co_u32 v12, vcc_lo, v12, v10
	v_mov_b32_e32 v10, v14
	v_mov_b32_e32 v11, v15
	v_add_co_ci_u32_e32 v13, vcc_lo, v13, v2, vcc_lo
	global_store_dwordx2 v[12:13], v[14:15], off
	s_waitcnt_vscnt null, 0x0
	global_atomic_cmpswap_x2 v[10:11], v3, v[8:11], s[26:27] offset:24 glc
	s_waitcnt vmcnt(0)
	v_cmp_ne_u64_e32 vcc_lo, v[10:11], v[14:15]
	s_and_b32 exec_lo, exec_lo, vcc_lo
	s_cbranch_execz .LBB4_148
; %bb.222:                              ;   in Loop: Header=BB4_149 Depth=1
	s_mov_b32 s4, 0
.LBB4_223:                              ;   Parent Loop BB4_149 Depth=1
                                        ; =>  This Inner Loop Header: Depth=2
	s_sleep 1
	global_store_dwordx2 v[12:13], v[10:11], off
	s_waitcnt_vscnt null, 0x0
	global_atomic_cmpswap_x2 v[14:15], v3, v[8:11], s[26:27] offset:24 glc
	s_waitcnt vmcnt(0)
	v_cmp_eq_u64_e32 vcc_lo, v[14:15], v[10:11]
	v_mov_b32_e32 v10, v14
	v_mov_b32_e32 v11, v15
	s_or_b32 s4, vcc_lo, s4
	s_andn2_b32 exec_lo, exec_lo, s4
	s_cbranch_execnz .LBB4_223
	s_branch .LBB4_148
.LBB4_224:
	s_branch .LBB4_253
.LBB4_225:
	s_cbranch_execz .LBB4_253
; %bb.226:
	v_readfirstlane_b32 s4, v37
	s_waitcnt vmcnt(0)
	v_mov_b32_e32 v8, 0
	v_mov_b32_e32 v9, 0
	v_cmp_eq_u32_e64 s4, s4, v37
	s_and_saveexec_b32 s5, s4
	s_cbranch_execz .LBB4_232
; %bb.227:
	v_mov_b32_e32 v2, 0
	s_mov_b32 s8, exec_lo
	global_load_dwordx2 v[5:6], v2, s[26:27] offset:24 glc dlc
	s_waitcnt vmcnt(0)
	buffer_gl1_inv
	buffer_gl0_inv
	s_clause 0x1
	global_load_dwordx2 v[3:4], v2, s[26:27] offset:40
	global_load_dwordx2 v[7:8], v2, s[26:27]
	s_waitcnt vmcnt(1)
	v_and_b32_e32 v4, v4, v6
	v_and_b32_e32 v3, v3, v5
	v_mul_lo_u32 v4, v4, 24
	v_mul_hi_u32 v9, v3, 24
	v_mul_lo_u32 v3, v3, 24
	v_add_nc_u32_e32 v4, v9, v4
	s_waitcnt vmcnt(0)
	v_add_co_u32 v3, vcc_lo, v7, v3
	v_add_co_ci_u32_e32 v4, vcc_lo, v8, v4, vcc_lo
	global_load_dwordx2 v[3:4], v[3:4], off glc dlc
	s_waitcnt vmcnt(0)
	global_atomic_cmpswap_x2 v[8:9], v2, v[3:6], s[26:27] offset:24 glc
	s_waitcnt vmcnt(0)
	buffer_gl1_inv
	buffer_gl0_inv
	v_cmpx_ne_u64_e64 v[8:9], v[5:6]
	s_cbranch_execz .LBB4_231
; %bb.228:
	s_mov_b32 s9, 0
.LBB4_229:                              ; =>This Inner Loop Header: Depth=1
	s_sleep 1
	s_clause 0x1
	global_load_dwordx2 v[3:4], v2, s[26:27] offset:40
	global_load_dwordx2 v[10:11], v2, s[26:27]
	v_mov_b32_e32 v5, v8
	v_mov_b32_e32 v6, v9
	s_waitcnt vmcnt(1)
	v_and_b32_e32 v3, v3, v5
	v_and_b32_e32 v4, v4, v6
	s_waitcnt vmcnt(0)
	v_mad_u64_u32 v[7:8], null, v3, 24, v[10:11]
	v_mov_b32_e32 v3, v8
	v_mad_u64_u32 v[3:4], null, v4, 24, v[3:4]
	v_mov_b32_e32 v8, v3
	global_load_dwordx2 v[3:4], v[7:8], off glc dlc
	s_waitcnt vmcnt(0)
	global_atomic_cmpswap_x2 v[8:9], v2, v[3:6], s[26:27] offset:24 glc
	s_waitcnt vmcnt(0)
	buffer_gl1_inv
	buffer_gl0_inv
	v_cmp_eq_u64_e32 vcc_lo, v[8:9], v[5:6]
	s_or_b32 s9, vcc_lo, s9
	s_andn2_b32 exec_lo, exec_lo, s9
	s_cbranch_execnz .LBB4_229
; %bb.230:
	s_or_b32 exec_lo, exec_lo, s9
.LBB4_231:
	s_or_b32 exec_lo, exec_lo, s8
.LBB4_232:
	s_or_b32 exec_lo, exec_lo, s5
	v_mov_b32_e32 v2, 0
	v_readfirstlane_b32 s8, v8
	v_readfirstlane_b32 s9, v9
	s_mov_b32 s5, exec_lo
	s_clause 0x1
	global_load_dwordx2 v[10:11], v2, s[26:27] offset:40
	global_load_dwordx4 v[4:7], v2, s[26:27]
	s_waitcnt vmcnt(1)
	v_readfirstlane_b32 s12, v10
	v_readfirstlane_b32 s13, v11
	s_and_b64 s[12:13], s[8:9], s[12:13]
	s_mul_i32 s14, s13, 24
	s_mul_hi_u32 s15, s12, 24
	s_mul_i32 s16, s12, 24
	s_add_i32 s15, s15, s14
	s_waitcnt vmcnt(0)
	v_add_co_u32 v8, vcc_lo, v4, s16
	v_add_co_ci_u32_e32 v9, vcc_lo, s15, v5, vcc_lo
	s_and_saveexec_b32 s14, s4
	s_cbranch_execz .LBB4_234
; %bb.233:
	v_mov_b32_e32 v10, s5
	v_mov_b32_e32 v11, v2
	;; [unrolled: 1-line block ×4, first 2 shown]
	global_store_dwordx4 v[8:9], v[10:13], off offset:8
.LBB4_234:
	s_or_b32 exec_lo, exec_lo, s14
	s_lshl_b64 s[12:13], s[12:13], 12
	v_and_or_b32 v0, 0xffffff1d, v0, 34
	v_add_co_u32 v6, vcc_lo, v6, s12
	v_add_co_ci_u32_e32 v7, vcc_lo, s13, v7, vcc_lo
	s_mov_b32 s12, 0
	v_mov_b32_e32 v3, v2
	s_mov_b32 s13, s12
	s_mov_b32 s14, s12
	;; [unrolled: 1-line block ×3, first 2 shown]
	v_readfirstlane_b32 s16, v6
	v_readfirstlane_b32 s17, v7
	v_mov_b32_e32 v10, s12
	v_mov_b32_e32 v11, s13
	;; [unrolled: 1-line block ×4, first 2 shown]
	global_store_dwordx4 v36, v[0:3], s[16:17]
	global_store_dwordx4 v36, v[10:13], s[16:17] offset:16
	global_store_dwordx4 v36, v[10:13], s[16:17] offset:32
	;; [unrolled: 1-line block ×3, first 2 shown]
	s_and_saveexec_b32 s5, s4
	s_cbranch_execz .LBB4_242
; %bb.235:
	v_mov_b32_e32 v6, 0
	v_mov_b32_e32 v10, s8
	;; [unrolled: 1-line block ×3, first 2 shown]
	s_clause 0x1
	global_load_dwordx2 v[12:13], v6, s[26:27] offset:32 glc dlc
	global_load_dwordx2 v[0:1], v6, s[26:27] offset:40
	s_waitcnt vmcnt(0)
	v_readfirstlane_b32 s12, v0
	v_readfirstlane_b32 s13, v1
	s_and_b64 s[12:13], s[12:13], s[8:9]
	s_mul_i32 s13, s13, 24
	s_mul_hi_u32 s14, s12, 24
	s_mul_i32 s12, s12, 24
	s_add_i32 s14, s14, s13
	v_add_co_u32 v4, vcc_lo, v4, s12
	v_add_co_ci_u32_e32 v5, vcc_lo, s14, v5, vcc_lo
	s_mov_b32 s12, exec_lo
	global_store_dwordx2 v[4:5], v[12:13], off
	s_waitcnt_vscnt null, 0x0
	global_atomic_cmpswap_x2 v[2:3], v6, v[10:13], s[26:27] offset:32 glc
	s_waitcnt vmcnt(0)
	v_cmpx_ne_u64_e64 v[2:3], v[12:13]
	s_cbranch_execz .LBB4_238
; %bb.236:
	s_mov_b32 s13, 0
.LBB4_237:                              ; =>This Inner Loop Header: Depth=1
	v_mov_b32_e32 v0, s8
	v_mov_b32_e32 v1, s9
	s_sleep 1
	global_store_dwordx2 v[4:5], v[2:3], off
	s_waitcnt_vscnt null, 0x0
	global_atomic_cmpswap_x2 v[0:1], v6, v[0:3], s[26:27] offset:32 glc
	s_waitcnt vmcnt(0)
	v_cmp_eq_u64_e32 vcc_lo, v[0:1], v[2:3]
	v_mov_b32_e32 v3, v1
	v_mov_b32_e32 v2, v0
	s_or_b32 s13, vcc_lo, s13
	s_andn2_b32 exec_lo, exec_lo, s13
	s_cbranch_execnz .LBB4_237
.LBB4_238:
	s_or_b32 exec_lo, exec_lo, s12
	v_mov_b32_e32 v3, 0
	s_mov_b32 s13, exec_lo
	s_mov_b32 s12, exec_lo
	v_mbcnt_lo_u32_b32 v2, s13, 0
	global_load_dwordx2 v[0:1], v3, s[26:27] offset:16
	v_cmpx_eq_u32_e32 0, v2
	s_cbranch_execz .LBB4_240
; %bb.239:
	s_bcnt1_i32_b32 s13, s13
	v_mov_b32_e32 v2, s13
	s_waitcnt vmcnt(0)
	global_atomic_add_x2 v[0:1], v[2:3], off offset:8
.LBB4_240:
	s_or_b32 exec_lo, exec_lo, s12
	s_waitcnt vmcnt(0)
	global_load_dwordx2 v[2:3], v[0:1], off offset:16
	s_waitcnt vmcnt(0)
	v_cmp_eq_u64_e32 vcc_lo, 0, v[2:3]
	s_cbranch_vccnz .LBB4_242
; %bb.241:
	global_load_dword v0, v[0:1], off offset:24
	v_mov_b32_e32 v1, 0
	s_waitcnt vmcnt(0)
	v_and_b32_e32 v4, 0x7fffff, v0
	s_waitcnt_vscnt null, 0x0
	global_store_dwordx2 v[2:3], v[0:1], off
	v_readfirstlane_b32 m0, v4
	s_sendmsg sendmsg(MSG_INTERRUPT)
.LBB4_242:
	s_or_b32 exec_lo, exec_lo, s5
	s_branch .LBB4_246
	.p2align	6
.LBB4_243:                              ;   in Loop: Header=BB4_246 Depth=1
	s_or_b32 exec_lo, exec_lo, s5
	v_readfirstlane_b32 s5, v0
	s_cmp_eq_u32 s5, 0
	s_cbranch_scc1 .LBB4_245
; %bb.244:                              ;   in Loop: Header=BB4_246 Depth=1
	s_sleep 1
	s_cbranch_execnz .LBB4_246
	s_branch .LBB4_248
	.p2align	6
.LBB4_245:
	s_branch .LBB4_248
.LBB4_246:                              ; =>This Inner Loop Header: Depth=1
	v_mov_b32_e32 v0, 1
	s_and_saveexec_b32 s5, s4
	s_cbranch_execz .LBB4_243
; %bb.247:                              ;   in Loop: Header=BB4_246 Depth=1
	global_load_dword v0, v[8:9], off offset:20 glc dlc
	s_waitcnt vmcnt(0)
	buffer_gl1_inv
	buffer_gl0_inv
	v_and_b32_e32 v0, 1, v0
	s_branch .LBB4_243
.LBB4_248:
	s_and_saveexec_b32 s5, s4
	s_cbranch_execz .LBB4_252
; %bb.249:
	v_mov_b32_e32 v6, 0
	s_clause 0x2
	global_load_dwordx2 v[2:3], v6, s[26:27] offset:40
	global_load_dwordx2 v[7:8], v6, s[26:27] offset:24 glc dlc
	global_load_dwordx2 v[4:5], v6, s[26:27]
	s_waitcnt vmcnt(2)
	v_add_co_u32 v9, vcc_lo, v2, 1
	v_add_co_ci_u32_e32 v10, vcc_lo, 0, v3, vcc_lo
	v_add_co_u32 v0, vcc_lo, v9, s8
	v_add_co_ci_u32_e32 v1, vcc_lo, s9, v10, vcc_lo
	v_cmp_eq_u64_e32 vcc_lo, 0, v[0:1]
	v_cndmask_b32_e32 v1, v1, v10, vcc_lo
	v_cndmask_b32_e32 v0, v0, v9, vcc_lo
	v_and_b32_e32 v3, v1, v3
	v_and_b32_e32 v2, v0, v2
	v_mul_lo_u32 v3, v3, 24
	v_mul_hi_u32 v9, v2, 24
	v_mul_lo_u32 v2, v2, 24
	v_add_nc_u32_e32 v3, v9, v3
	s_waitcnt vmcnt(0)
	v_add_co_u32 v4, vcc_lo, v4, v2
	v_mov_b32_e32 v2, v7
	v_add_co_ci_u32_e32 v5, vcc_lo, v5, v3, vcc_lo
	v_mov_b32_e32 v3, v8
	global_store_dwordx2 v[4:5], v[7:8], off
	s_waitcnt_vscnt null, 0x0
	global_atomic_cmpswap_x2 v[2:3], v6, v[0:3], s[26:27] offset:24 glc
	s_waitcnt vmcnt(0)
	v_cmp_ne_u64_e32 vcc_lo, v[2:3], v[7:8]
	s_and_b32 exec_lo, exec_lo, vcc_lo
	s_cbranch_execz .LBB4_252
; %bb.250:
	s_mov_b32 s4, 0
.LBB4_251:                              ; =>This Inner Loop Header: Depth=1
	s_sleep 1
	global_store_dwordx2 v[4:5], v[2:3], off
	s_waitcnt_vscnt null, 0x0
	global_atomic_cmpswap_x2 v[7:8], v6, v[0:3], s[26:27] offset:24 glc
	s_waitcnt vmcnt(0)
	v_cmp_eq_u64_e32 vcc_lo, v[7:8], v[2:3]
	v_mov_b32_e32 v2, v7
	v_mov_b32_e32 v3, v8
	s_or_b32 s4, vcc_lo, s4
	s_andn2_b32 exec_lo, exec_lo, s4
	s_cbranch_execnz .LBB4_251
.LBB4_252:
	s_or_b32 exec_lo, exec_lo, s5
.LBB4_253:
	v_readfirstlane_b32 s4, v37
	s_waitcnt vmcnt(0)
	v_mov_b32_e32 v6, 0
	v_mov_b32_e32 v7, 0
	v_cmp_eq_u32_e64 s4, s4, v37
	s_and_saveexec_b32 s5, s4
	s_cbranch_execz .LBB4_259
; %bb.254:
	v_mov_b32_e32 v0, 0
	s_mov_b32 s8, exec_lo
	global_load_dwordx2 v[3:4], v0, s[26:27] offset:24 glc dlc
	s_waitcnt vmcnt(0)
	buffer_gl1_inv
	buffer_gl0_inv
	s_clause 0x1
	global_load_dwordx2 v[1:2], v0, s[26:27] offset:40
	global_load_dwordx2 v[5:6], v0, s[26:27]
	s_waitcnt vmcnt(1)
	v_and_b32_e32 v2, v2, v4
	v_and_b32_e32 v1, v1, v3
	v_mul_lo_u32 v2, v2, 24
	v_mul_hi_u32 v7, v1, 24
	v_mul_lo_u32 v1, v1, 24
	v_add_nc_u32_e32 v2, v7, v2
	s_waitcnt vmcnt(0)
	v_add_co_u32 v1, vcc_lo, v5, v1
	v_add_co_ci_u32_e32 v2, vcc_lo, v6, v2, vcc_lo
	global_load_dwordx2 v[1:2], v[1:2], off glc dlc
	s_waitcnt vmcnt(0)
	global_atomic_cmpswap_x2 v[6:7], v0, v[1:4], s[26:27] offset:24 glc
	s_waitcnt vmcnt(0)
	buffer_gl1_inv
	buffer_gl0_inv
	v_cmpx_ne_u64_e64 v[6:7], v[3:4]
	s_cbranch_execz .LBB4_258
; %bb.255:
	s_mov_b32 s9, 0
	.p2align	6
.LBB4_256:                              ; =>This Inner Loop Header: Depth=1
	s_sleep 1
	s_clause 0x1
	global_load_dwordx2 v[1:2], v0, s[26:27] offset:40
	global_load_dwordx2 v[8:9], v0, s[26:27]
	v_mov_b32_e32 v3, v6
	v_mov_b32_e32 v4, v7
	s_waitcnt vmcnt(1)
	v_and_b32_e32 v1, v1, v3
	v_and_b32_e32 v2, v2, v4
	s_waitcnt vmcnt(0)
	v_mad_u64_u32 v[5:6], null, v1, 24, v[8:9]
	v_mov_b32_e32 v1, v6
	v_mad_u64_u32 v[1:2], null, v2, 24, v[1:2]
	v_mov_b32_e32 v6, v1
	global_load_dwordx2 v[1:2], v[5:6], off glc dlc
	s_waitcnt vmcnt(0)
	global_atomic_cmpswap_x2 v[6:7], v0, v[1:4], s[26:27] offset:24 glc
	s_waitcnt vmcnt(0)
	buffer_gl1_inv
	buffer_gl0_inv
	v_cmp_eq_u64_e32 vcc_lo, v[6:7], v[3:4]
	s_or_b32 s9, vcc_lo, s9
	s_andn2_b32 exec_lo, exec_lo, s9
	s_cbranch_execnz .LBB4_256
; %bb.257:
	s_or_b32 exec_lo, exec_lo, s9
.LBB4_258:
	s_or_b32 exec_lo, exec_lo, s8
.LBB4_259:
	s_or_b32 exec_lo, exec_lo, s5
	v_mov_b32_e32 v5, 0
	v_readfirstlane_b32 s8, v6
	v_readfirstlane_b32 s9, v7
	s_mov_b32 s5, exec_lo
	s_clause 0x1
	global_load_dwordx2 v[8:9], v5, s[26:27] offset:40
	global_load_dwordx4 v[0:3], v5, s[26:27]
	s_waitcnt vmcnt(1)
	v_readfirstlane_b32 s12, v8
	v_readfirstlane_b32 s13, v9
	s_and_b64 s[12:13], s[8:9], s[12:13]
	s_mul_i32 s14, s13, 24
	s_mul_hi_u32 s15, s12, 24
	s_mul_i32 s16, s12, 24
	s_add_i32 s15, s15, s14
	s_waitcnt vmcnt(0)
	v_add_co_u32 v8, vcc_lo, v0, s16
	v_add_co_ci_u32_e32 v9, vcc_lo, s15, v1, vcc_lo
	s_and_saveexec_b32 s14, s4
	s_cbranch_execz .LBB4_261
; %bb.260:
	v_mov_b32_e32 v4, s5
	v_mov_b32_e32 v6, 2
	v_mov_b32_e32 v7, 1
	global_store_dwordx4 v[8:9], v[4:7], off offset:8
.LBB4_261:
	s_or_b32 exec_lo, exec_lo, s14
	s_lshl_b64 s[12:13], s[12:13], 12
	v_mov_b32_e32 v4, 33
	v_add_co_u32 v2, vcc_lo, v2, s12
	v_add_co_ci_u32_e32 v3, vcc_lo, s13, v3, vcc_lo
	s_mov_b32 s12, 0
	v_add_co_u32 v10, vcc_lo, v2, v36
	s_mov_b32 s13, s12
	s_mov_b32 s14, s12
	;; [unrolled: 1-line block ×3, first 2 shown]
	v_mov_b32_e32 v6, v5
	v_mov_b32_e32 v7, v5
	v_readfirstlane_b32 s16, v2
	v_readfirstlane_b32 s17, v3
	v_mov_b32_e32 v12, s12
	v_add_co_ci_u32_e32 v11, vcc_lo, 0, v3, vcc_lo
	v_mov_b32_e32 v13, s13
	v_mov_b32_e32 v14, s14
	;; [unrolled: 1-line block ×3, first 2 shown]
	global_store_dwordx4 v36, v[4:7], s[16:17]
	global_store_dwordx4 v36, v[12:15], s[16:17] offset:16
	global_store_dwordx4 v36, v[12:15], s[16:17] offset:32
	;; [unrolled: 1-line block ×3, first 2 shown]
	s_and_saveexec_b32 s5, s4
	s_cbranch_execz .LBB4_269
; %bb.262:
	v_mov_b32_e32 v6, 0
	v_mov_b32_e32 v12, s8
	;; [unrolled: 1-line block ×3, first 2 shown]
	s_clause 0x1
	global_load_dwordx2 v[14:15], v6, s[26:27] offset:32 glc dlc
	global_load_dwordx2 v[2:3], v6, s[26:27] offset:40
	s_waitcnt vmcnt(0)
	v_readfirstlane_b32 s12, v2
	v_readfirstlane_b32 s13, v3
	s_and_b64 s[12:13], s[12:13], s[8:9]
	s_mul_i32 s13, s13, 24
	s_mul_hi_u32 s14, s12, 24
	s_mul_i32 s12, s12, 24
	s_add_i32 s14, s14, s13
	v_add_co_u32 v4, vcc_lo, v0, s12
	v_add_co_ci_u32_e32 v5, vcc_lo, s14, v1, vcc_lo
	s_mov_b32 s12, exec_lo
	global_store_dwordx2 v[4:5], v[14:15], off
	s_waitcnt_vscnt null, 0x0
	global_atomic_cmpswap_x2 v[2:3], v6, v[12:15], s[26:27] offset:32 glc
	s_waitcnt vmcnt(0)
	v_cmpx_ne_u64_e64 v[2:3], v[14:15]
	s_cbranch_execz .LBB4_265
; %bb.263:
	s_mov_b32 s13, 0
.LBB4_264:                              ; =>This Inner Loop Header: Depth=1
	v_mov_b32_e32 v0, s8
	v_mov_b32_e32 v1, s9
	s_sleep 1
	global_store_dwordx2 v[4:5], v[2:3], off
	s_waitcnt_vscnt null, 0x0
	global_atomic_cmpswap_x2 v[0:1], v6, v[0:3], s[26:27] offset:32 glc
	s_waitcnt vmcnt(0)
	v_cmp_eq_u64_e32 vcc_lo, v[0:1], v[2:3]
	v_mov_b32_e32 v3, v1
	v_mov_b32_e32 v2, v0
	s_or_b32 s13, vcc_lo, s13
	s_andn2_b32 exec_lo, exec_lo, s13
	s_cbranch_execnz .LBB4_264
.LBB4_265:
	s_or_b32 exec_lo, exec_lo, s12
	v_mov_b32_e32 v3, 0
	s_mov_b32 s13, exec_lo
	s_mov_b32 s12, exec_lo
	v_mbcnt_lo_u32_b32 v2, s13, 0
	global_load_dwordx2 v[0:1], v3, s[26:27] offset:16
	v_cmpx_eq_u32_e32 0, v2
	s_cbranch_execz .LBB4_267
; %bb.266:
	s_bcnt1_i32_b32 s13, s13
	v_mov_b32_e32 v2, s13
	s_waitcnt vmcnt(0)
	global_atomic_add_x2 v[0:1], v[2:3], off offset:8
.LBB4_267:
	s_or_b32 exec_lo, exec_lo, s12
	s_waitcnt vmcnt(0)
	global_load_dwordx2 v[2:3], v[0:1], off offset:16
	s_waitcnt vmcnt(0)
	v_cmp_eq_u64_e32 vcc_lo, 0, v[2:3]
	s_cbranch_vccnz .LBB4_269
; %bb.268:
	global_load_dword v0, v[0:1], off offset:24
	v_mov_b32_e32 v1, 0
	s_waitcnt vmcnt(0)
	v_and_b32_e32 v4, 0x7fffff, v0
	s_waitcnt_vscnt null, 0x0
	global_store_dwordx2 v[2:3], v[0:1], off
	v_readfirstlane_b32 m0, v4
	s_sendmsg sendmsg(MSG_INTERRUPT)
.LBB4_269:
	s_or_b32 exec_lo, exec_lo, s5
	s_branch .LBB4_273
	.p2align	6
.LBB4_270:                              ;   in Loop: Header=BB4_273 Depth=1
	s_or_b32 exec_lo, exec_lo, s5
	v_readfirstlane_b32 s5, v0
	s_cmp_eq_u32 s5, 0
	s_cbranch_scc1 .LBB4_272
; %bb.271:                              ;   in Loop: Header=BB4_273 Depth=1
	s_sleep 1
	s_cbranch_execnz .LBB4_273
	s_branch .LBB4_275
	.p2align	6
.LBB4_272:
	s_branch .LBB4_275
.LBB4_273:                              ; =>This Inner Loop Header: Depth=1
	v_mov_b32_e32 v0, 1
	s_and_saveexec_b32 s5, s4
	s_cbranch_execz .LBB4_270
; %bb.274:                              ;   in Loop: Header=BB4_273 Depth=1
	global_load_dword v0, v[8:9], off offset:20 glc dlc
	s_waitcnt vmcnt(0)
	buffer_gl1_inv
	buffer_gl0_inv
	v_and_b32_e32 v0, 1, v0
	s_branch .LBB4_270
.LBB4_275:
	global_load_dwordx2 v[0:1], v[10:11], off
	s_and_saveexec_b32 s5, s4
	s_cbranch_execz .LBB4_279
; %bb.276:
	v_mov_b32_e32 v8, 0
	s_clause 0x2
	global_load_dwordx2 v[4:5], v8, s[26:27] offset:40
	global_load_dwordx2 v[9:10], v8, s[26:27] offset:24 glc dlc
	global_load_dwordx2 v[6:7], v8, s[26:27]
	s_waitcnt vmcnt(2)
	v_add_co_u32 v11, vcc_lo, v4, 1
	v_add_co_ci_u32_e32 v12, vcc_lo, 0, v5, vcc_lo
	v_add_co_u32 v2, vcc_lo, v11, s8
	v_add_co_ci_u32_e32 v3, vcc_lo, s9, v12, vcc_lo
	v_cmp_eq_u64_e32 vcc_lo, 0, v[2:3]
	v_cndmask_b32_e32 v3, v3, v12, vcc_lo
	v_cndmask_b32_e32 v2, v2, v11, vcc_lo
	v_and_b32_e32 v5, v3, v5
	v_and_b32_e32 v4, v2, v4
	v_mul_lo_u32 v5, v5, 24
	v_mul_hi_u32 v11, v4, 24
	v_mul_lo_u32 v4, v4, 24
	v_add_nc_u32_e32 v5, v11, v5
	s_waitcnt vmcnt(0)
	v_add_co_u32 v6, vcc_lo, v6, v4
	v_mov_b32_e32 v4, v9
	v_add_co_ci_u32_e32 v7, vcc_lo, v7, v5, vcc_lo
	v_mov_b32_e32 v5, v10
	global_store_dwordx2 v[6:7], v[9:10], off
	s_waitcnt_vscnt null, 0x0
	global_atomic_cmpswap_x2 v[4:5], v8, v[2:5], s[26:27] offset:24 glc
	s_waitcnt vmcnt(0)
	v_cmp_ne_u64_e32 vcc_lo, v[4:5], v[9:10]
	s_and_b32 exec_lo, exec_lo, vcc_lo
	s_cbranch_execz .LBB4_279
; %bb.277:
	s_mov_b32 s4, 0
.LBB4_278:                              ; =>This Inner Loop Header: Depth=1
	s_sleep 1
	global_store_dwordx2 v[6:7], v[4:5], off
	s_waitcnt_vscnt null, 0x0
	global_atomic_cmpswap_x2 v[9:10], v8, v[2:5], s[26:27] offset:24 glc
	s_waitcnt vmcnt(0)
	v_cmp_eq_u64_e32 vcc_lo, v[9:10], v[4:5]
	v_mov_b32_e32 v4, v9
	v_mov_b32_e32 v5, v10
	s_or_b32 s4, vcc_lo, s4
	s_andn2_b32 exec_lo, exec_lo, s4
	s_cbranch_execnz .LBB4_278
.LBB4_279:
	s_or_b32 exec_lo, exec_lo, s5
	s_getpc_b64 s[8:9]
	s_add_u32 s8, s8, .str.6@rel32@lo+4
	s_addc_u32 s9, s9, .str.6@rel32@hi+12
	s_cmp_lg_u64 s[8:9], 0
	s_cselect_b32 s34, -1, 0
	s_and_b32 vcc_lo, exec_lo, s34
	s_cbranch_vccz .LBB4_358
; %bb.280:
	s_waitcnt vmcnt(0)
	v_and_b32_e32 v31, 2, v0
	v_mov_b32_e32 v6, 0
	v_and_b32_e32 v2, -3, v0
	v_mov_b32_e32 v3, v1
	v_mov_b32_e32 v7, 2
	;; [unrolled: 1-line block ×3, first 2 shown]
	s_mov_b64 s[12:13], 3
	s_branch .LBB4_282
.LBB4_281:                              ;   in Loop: Header=BB4_282 Depth=1
	s_or_b32 exec_lo, exec_lo, s5
	s_sub_u32 s12, s12, s14
	s_subb_u32 s13, s13, s15
	s_add_u32 s8, s8, s14
	s_addc_u32 s9, s9, s15
	s_cmp_lg_u64 s[12:13], 0
	s_cbranch_scc0 .LBB4_357
.LBB4_282:                              ; =>This Loop Header: Depth=1
                                        ;     Child Loop BB4_291 Depth 2
                                        ;     Child Loop BB4_287 Depth 2
	;; [unrolled: 1-line block ×11, first 2 shown]
	v_cmp_lt_u64_e64 s4, s[12:13], 56
	v_cmp_gt_u64_e64 s5, s[12:13], 7
                                        ; implicit-def: $vgpr11_vgpr12
                                        ; implicit-def: $sgpr22
	s_and_b32 s4, s4, exec_lo
	s_cselect_b32 s15, s13, 0
	s_cselect_b32 s14, s12, 56
	s_and_b32 vcc_lo, exec_lo, s5
	s_mov_b32 s4, -1
	s_cbranch_vccz .LBB4_289
; %bb.283:                              ;   in Loop: Header=BB4_282 Depth=1
	s_andn2_b32 vcc_lo, exec_lo, s4
	s_mov_b64 s[4:5], s[8:9]
	s_cbranch_vccz .LBB4_293
.LBB4_284:                              ;   in Loop: Header=BB4_282 Depth=1
	s_cmp_gt_u32 s22, 7
	s_cbranch_scc1 .LBB4_294
.LBB4_285:                              ;   in Loop: Header=BB4_282 Depth=1
	v_mov_b32_e32 v13, 0
	v_mov_b32_e32 v14, 0
	s_cmp_eq_u32 s22, 0
	s_cbranch_scc1 .LBB4_288
; %bb.286:                              ;   in Loop: Header=BB4_282 Depth=1
	s_mov_b64 s[16:17], 0
	s_mov_b64 s[18:19], 0
.LBB4_287:                              ;   Parent Loop BB4_282 Depth=1
                                        ; =>  This Inner Loop Header: Depth=2
	s_add_u32 s24, s4, s18
	s_addc_u32 s25, s5, s19
	s_add_u32 s18, s18, 1
	global_load_ubyte v4, v6, s[24:25]
	s_addc_u32 s19, s19, 0
	s_waitcnt vmcnt(0)
	v_and_b32_e32 v5, 0xffff, v4
	v_lshlrev_b64 v[4:5], s16, v[5:6]
	s_add_u32 s16, s16, 8
	s_addc_u32 s17, s17, 0
	s_cmp_lg_u32 s22, s18
	v_or_b32_e32 v13, v4, v13
	v_or_b32_e32 v14, v5, v14
	s_cbranch_scc1 .LBB4_287
.LBB4_288:                              ;   in Loop: Header=BB4_282 Depth=1
	s_mov_b32 s23, 0
	s_cbranch_execz .LBB4_295
	s_branch .LBB4_296
.LBB4_289:                              ;   in Loop: Header=BB4_282 Depth=1
	v_mov_b32_e32 v11, 0
	v_mov_b32_e32 v12, 0
	s_cmp_eq_u64 s[12:13], 0
	s_mov_b64 s[4:5], 0
	s_cbranch_scc1 .LBB4_292
; %bb.290:                              ;   in Loop: Header=BB4_282 Depth=1
	v_mov_b32_e32 v11, 0
	v_mov_b32_e32 v12, 0
	s_lshl_b64 s[16:17], s[14:15], 3
	s_mov_b64 s[18:19], s[8:9]
.LBB4_291:                              ;   Parent Loop BB4_282 Depth=1
                                        ; =>  This Inner Loop Header: Depth=2
	global_load_ubyte v4, v6, s[18:19]
	s_waitcnt vmcnt(0)
	v_and_b32_e32 v5, 0xffff, v4
	v_lshlrev_b64 v[4:5], s4, v[5:6]
	s_add_u32 s4, s4, 8
	s_addc_u32 s5, s5, 0
	s_add_u32 s18, s18, 1
	s_addc_u32 s19, s19, 0
	s_cmp_lg_u32 s16, s4
	v_or_b32_e32 v11, v4, v11
	v_or_b32_e32 v12, v5, v12
	s_cbranch_scc1 .LBB4_291
.LBB4_292:                              ;   in Loop: Header=BB4_282 Depth=1
	s_mov_b32 s22, 0
	s_mov_b64 s[4:5], s[8:9]
	s_cbranch_execnz .LBB4_284
.LBB4_293:                              ;   in Loop: Header=BB4_282 Depth=1
	global_load_dwordx2 v[11:12], v6, s[8:9]
	s_add_i32 s22, s14, -8
	s_add_u32 s4, s8, 8
	s_addc_u32 s5, s9, 0
	s_cmp_gt_u32 s22, 7
	s_cbranch_scc0 .LBB4_285
.LBB4_294:                              ;   in Loop: Header=BB4_282 Depth=1
                                        ; implicit-def: $vgpr13_vgpr14
                                        ; implicit-def: $sgpr23
.LBB4_295:                              ;   in Loop: Header=BB4_282 Depth=1
	global_load_dwordx2 v[13:14], v6, s[4:5]
	s_add_i32 s23, s22, -8
	s_add_u32 s4, s4, 8
	s_addc_u32 s5, s5, 0
.LBB4_296:                              ;   in Loop: Header=BB4_282 Depth=1
	s_cmp_gt_u32 s23, 7
	s_cbranch_scc1 .LBB4_301
; %bb.297:                              ;   in Loop: Header=BB4_282 Depth=1
	v_mov_b32_e32 v15, 0
	v_mov_b32_e32 v16, 0
	s_cmp_eq_u32 s23, 0
	s_cbranch_scc1 .LBB4_300
; %bb.298:                              ;   in Loop: Header=BB4_282 Depth=1
	s_mov_b64 s[16:17], 0
	s_mov_b64 s[18:19], 0
.LBB4_299:                              ;   Parent Loop BB4_282 Depth=1
                                        ; =>  This Inner Loop Header: Depth=2
	s_add_u32 s24, s4, s18
	s_addc_u32 s25, s5, s19
	s_add_u32 s18, s18, 1
	global_load_ubyte v4, v6, s[24:25]
	s_addc_u32 s19, s19, 0
	s_waitcnt vmcnt(0)
	v_and_b32_e32 v5, 0xffff, v4
	v_lshlrev_b64 v[4:5], s16, v[5:6]
	s_add_u32 s16, s16, 8
	s_addc_u32 s17, s17, 0
	s_cmp_lg_u32 s23, s18
	v_or_b32_e32 v15, v4, v15
	v_or_b32_e32 v16, v5, v16
	s_cbranch_scc1 .LBB4_299
.LBB4_300:                              ;   in Loop: Header=BB4_282 Depth=1
	s_mov_b32 s22, 0
	s_cbranch_execz .LBB4_302
	s_branch .LBB4_303
.LBB4_301:                              ;   in Loop: Header=BB4_282 Depth=1
                                        ; implicit-def: $sgpr22
.LBB4_302:                              ;   in Loop: Header=BB4_282 Depth=1
	global_load_dwordx2 v[15:16], v6, s[4:5]
	s_add_i32 s22, s23, -8
	s_add_u32 s4, s4, 8
	s_addc_u32 s5, s5, 0
.LBB4_303:                              ;   in Loop: Header=BB4_282 Depth=1
	s_cmp_gt_u32 s22, 7
	s_cbranch_scc1 .LBB4_308
; %bb.304:                              ;   in Loop: Header=BB4_282 Depth=1
	v_mov_b32_e32 v17, 0
	v_mov_b32_e32 v18, 0
	s_cmp_eq_u32 s22, 0
	s_cbranch_scc1 .LBB4_307
; %bb.305:                              ;   in Loop: Header=BB4_282 Depth=1
	s_mov_b64 s[16:17], 0
	s_mov_b64 s[18:19], 0
.LBB4_306:                              ;   Parent Loop BB4_282 Depth=1
                                        ; =>  This Inner Loop Header: Depth=2
	s_add_u32 s24, s4, s18
	s_addc_u32 s25, s5, s19
	s_add_u32 s18, s18, 1
	global_load_ubyte v4, v6, s[24:25]
	s_addc_u32 s19, s19, 0
	s_waitcnt vmcnt(0)
	v_and_b32_e32 v5, 0xffff, v4
	v_lshlrev_b64 v[4:5], s16, v[5:6]
	s_add_u32 s16, s16, 8
	s_addc_u32 s17, s17, 0
	s_cmp_lg_u32 s22, s18
	v_or_b32_e32 v17, v4, v17
	v_or_b32_e32 v18, v5, v18
	s_cbranch_scc1 .LBB4_306
.LBB4_307:                              ;   in Loop: Header=BB4_282 Depth=1
	s_mov_b32 s23, 0
	s_cbranch_execz .LBB4_309
	s_branch .LBB4_310
.LBB4_308:                              ;   in Loop: Header=BB4_282 Depth=1
                                        ; implicit-def: $vgpr17_vgpr18
                                        ; implicit-def: $sgpr23
.LBB4_309:                              ;   in Loop: Header=BB4_282 Depth=1
	global_load_dwordx2 v[17:18], v6, s[4:5]
	s_add_i32 s23, s22, -8
	s_add_u32 s4, s4, 8
	s_addc_u32 s5, s5, 0
.LBB4_310:                              ;   in Loop: Header=BB4_282 Depth=1
	s_cmp_gt_u32 s23, 7
	s_cbranch_scc1 .LBB4_315
; %bb.311:                              ;   in Loop: Header=BB4_282 Depth=1
	v_mov_b32_e32 v19, 0
	v_mov_b32_e32 v20, 0
	s_cmp_eq_u32 s23, 0
	s_cbranch_scc1 .LBB4_314
; %bb.312:                              ;   in Loop: Header=BB4_282 Depth=1
	s_mov_b64 s[16:17], 0
	s_mov_b64 s[18:19], 0
.LBB4_313:                              ;   Parent Loop BB4_282 Depth=1
                                        ; =>  This Inner Loop Header: Depth=2
	s_add_u32 s24, s4, s18
	s_addc_u32 s25, s5, s19
	s_add_u32 s18, s18, 1
	global_load_ubyte v4, v6, s[24:25]
	s_addc_u32 s19, s19, 0
	s_waitcnt vmcnt(0)
	v_and_b32_e32 v5, 0xffff, v4
	v_lshlrev_b64 v[4:5], s16, v[5:6]
	s_add_u32 s16, s16, 8
	s_addc_u32 s17, s17, 0
	s_cmp_lg_u32 s23, s18
	v_or_b32_e32 v19, v4, v19
	v_or_b32_e32 v20, v5, v20
	s_cbranch_scc1 .LBB4_313
.LBB4_314:                              ;   in Loop: Header=BB4_282 Depth=1
	s_mov_b32 s22, 0
	s_cbranch_execz .LBB4_316
	s_branch .LBB4_317
.LBB4_315:                              ;   in Loop: Header=BB4_282 Depth=1
                                        ; implicit-def: $sgpr22
.LBB4_316:                              ;   in Loop: Header=BB4_282 Depth=1
	global_load_dwordx2 v[19:20], v6, s[4:5]
	s_add_i32 s22, s23, -8
	s_add_u32 s4, s4, 8
	s_addc_u32 s5, s5, 0
.LBB4_317:                              ;   in Loop: Header=BB4_282 Depth=1
	s_cmp_gt_u32 s22, 7
	s_cbranch_scc1 .LBB4_322
; %bb.318:                              ;   in Loop: Header=BB4_282 Depth=1
	v_mov_b32_e32 v21, 0
	v_mov_b32_e32 v22, 0
	s_cmp_eq_u32 s22, 0
	s_cbranch_scc1 .LBB4_321
; %bb.319:                              ;   in Loop: Header=BB4_282 Depth=1
	s_mov_b64 s[16:17], 0
	s_mov_b64 s[18:19], 0
.LBB4_320:                              ;   Parent Loop BB4_282 Depth=1
                                        ; =>  This Inner Loop Header: Depth=2
	s_add_u32 s24, s4, s18
	s_addc_u32 s25, s5, s19
	s_add_u32 s18, s18, 1
	global_load_ubyte v4, v6, s[24:25]
	s_addc_u32 s19, s19, 0
	s_waitcnt vmcnt(0)
	v_and_b32_e32 v5, 0xffff, v4
	v_lshlrev_b64 v[4:5], s16, v[5:6]
	s_add_u32 s16, s16, 8
	s_addc_u32 s17, s17, 0
	s_cmp_lg_u32 s22, s18
	v_or_b32_e32 v21, v4, v21
	v_or_b32_e32 v22, v5, v22
	s_cbranch_scc1 .LBB4_320
.LBB4_321:                              ;   in Loop: Header=BB4_282 Depth=1
	s_mov_b32 s23, 0
	s_cbranch_execz .LBB4_323
	s_branch .LBB4_324
.LBB4_322:                              ;   in Loop: Header=BB4_282 Depth=1
                                        ; implicit-def: $vgpr21_vgpr22
                                        ; implicit-def: $sgpr23
.LBB4_323:                              ;   in Loop: Header=BB4_282 Depth=1
	global_load_dwordx2 v[21:22], v6, s[4:5]
	s_add_i32 s23, s22, -8
	s_add_u32 s4, s4, 8
	s_addc_u32 s5, s5, 0
.LBB4_324:                              ;   in Loop: Header=BB4_282 Depth=1
	s_cmp_gt_u32 s23, 7
	s_cbranch_scc1 .LBB4_329
; %bb.325:                              ;   in Loop: Header=BB4_282 Depth=1
	v_mov_b32_e32 v23, 0
	v_mov_b32_e32 v24, 0
	s_cmp_eq_u32 s23, 0
	s_cbranch_scc1 .LBB4_328
; %bb.326:                              ;   in Loop: Header=BB4_282 Depth=1
	s_mov_b64 s[16:17], 0
	s_mov_b64 s[18:19], s[4:5]
.LBB4_327:                              ;   Parent Loop BB4_282 Depth=1
                                        ; =>  This Inner Loop Header: Depth=2
	global_load_ubyte v4, v6, s[18:19]
	s_add_i32 s23, s23, -1
	s_waitcnt vmcnt(0)
	v_and_b32_e32 v5, 0xffff, v4
	v_lshlrev_b64 v[4:5], s16, v[5:6]
	s_add_u32 s16, s16, 8
	s_addc_u32 s17, s17, 0
	s_add_u32 s18, s18, 1
	s_addc_u32 s19, s19, 0
	s_cmp_lg_u32 s23, 0
	v_or_b32_e32 v23, v4, v23
	v_or_b32_e32 v24, v5, v24
	s_cbranch_scc1 .LBB4_327
.LBB4_328:                              ;   in Loop: Header=BB4_282 Depth=1
	s_cbranch_execz .LBB4_330
	s_branch .LBB4_331
.LBB4_329:                              ;   in Loop: Header=BB4_282 Depth=1
.LBB4_330:                              ;   in Loop: Header=BB4_282 Depth=1
	global_load_dwordx2 v[23:24], v6, s[4:5]
.LBB4_331:                              ;   in Loop: Header=BB4_282 Depth=1
	v_readfirstlane_b32 s4, v37
	s_waitcnt vmcnt(0)
	v_mov_b32_e32 v4, 0
	v_mov_b32_e32 v5, 0
	v_cmp_eq_u32_e64 s4, s4, v37
	s_and_saveexec_b32 s5, s4
	s_cbranch_execz .LBB4_337
; %bb.332:                              ;   in Loop: Header=BB4_282 Depth=1
	global_load_dwordx2 v[27:28], v6, s[26:27] offset:24 glc dlc
	s_waitcnt vmcnt(0)
	buffer_gl1_inv
	buffer_gl0_inv
	s_clause 0x1
	global_load_dwordx2 v[4:5], v6, s[26:27] offset:40
	global_load_dwordx2 v[9:10], v6, s[26:27]
	s_mov_b32 s16, exec_lo
	s_waitcnt vmcnt(1)
	v_and_b32_e32 v5, v5, v28
	v_and_b32_e32 v4, v4, v27
	v_mul_lo_u32 v5, v5, 24
	v_mul_hi_u32 v25, v4, 24
	v_mul_lo_u32 v4, v4, 24
	v_add_nc_u32_e32 v5, v25, v5
	s_waitcnt vmcnt(0)
	v_add_co_u32 v4, vcc_lo, v9, v4
	v_add_co_ci_u32_e32 v5, vcc_lo, v10, v5, vcc_lo
	global_load_dwordx2 v[25:26], v[4:5], off glc dlc
	s_waitcnt vmcnt(0)
	global_atomic_cmpswap_x2 v[4:5], v6, v[25:28], s[26:27] offset:24 glc
	s_waitcnt vmcnt(0)
	buffer_gl1_inv
	buffer_gl0_inv
	v_cmpx_ne_u64_e64 v[4:5], v[27:28]
	s_cbranch_execz .LBB4_336
; %bb.333:                              ;   in Loop: Header=BB4_282 Depth=1
	s_mov_b32 s17, 0
	.p2align	6
.LBB4_334:                              ;   Parent Loop BB4_282 Depth=1
                                        ; =>  This Inner Loop Header: Depth=2
	s_sleep 1
	s_clause 0x1
	global_load_dwordx2 v[9:10], v6, s[26:27] offset:40
	global_load_dwordx2 v[25:26], v6, s[26:27]
	v_mov_b32_e32 v28, v5
	v_mov_b32_e32 v27, v4
	s_waitcnt vmcnt(1)
	v_and_b32_e32 v4, v9, v27
	v_and_b32_e32 v9, v10, v28
	s_waitcnt vmcnt(0)
	v_mad_u64_u32 v[4:5], null, v4, 24, v[25:26]
	v_mad_u64_u32 v[9:10], null, v9, 24, v[5:6]
	v_mov_b32_e32 v5, v9
	global_load_dwordx2 v[25:26], v[4:5], off glc dlc
	s_waitcnt vmcnt(0)
	global_atomic_cmpswap_x2 v[4:5], v6, v[25:28], s[26:27] offset:24 glc
	s_waitcnt vmcnt(0)
	buffer_gl1_inv
	buffer_gl0_inv
	v_cmp_eq_u64_e32 vcc_lo, v[4:5], v[27:28]
	s_or_b32 s17, vcc_lo, s17
	s_andn2_b32 exec_lo, exec_lo, s17
	s_cbranch_execnz .LBB4_334
; %bb.335:                              ;   in Loop: Header=BB4_282 Depth=1
	s_or_b32 exec_lo, exec_lo, s17
.LBB4_336:                              ;   in Loop: Header=BB4_282 Depth=1
	s_or_b32 exec_lo, exec_lo, s16
.LBB4_337:                              ;   in Loop: Header=BB4_282 Depth=1
	s_or_b32 exec_lo, exec_lo, s5
	s_clause 0x1
	global_load_dwordx2 v[9:10], v6, s[26:27] offset:40
	global_load_dwordx4 v[25:28], v6, s[26:27]
	v_readfirstlane_b32 s16, v4
	v_readfirstlane_b32 s17, v5
	s_mov_b32 s5, exec_lo
	s_waitcnt vmcnt(1)
	v_readfirstlane_b32 s18, v9
	v_readfirstlane_b32 s19, v10
	s_and_b64 s[18:19], s[16:17], s[18:19]
	s_mul_i32 s22, s19, 24
	s_mul_hi_u32 s23, s18, 24
	s_mul_i32 s24, s18, 24
	s_add_i32 s23, s23, s22
	s_waitcnt vmcnt(0)
	v_add_co_u32 v29, vcc_lo, v25, s24
	v_add_co_ci_u32_e32 v30, vcc_lo, s23, v26, vcc_lo
	s_and_saveexec_b32 s22, s4
	s_cbranch_execz .LBB4_339
; %bb.338:                              ;   in Loop: Header=BB4_282 Depth=1
	v_mov_b32_e32 v5, s5
	global_store_dwordx4 v[29:30], v[5:8], off offset:8
.LBB4_339:                              ;   in Loop: Header=BB4_282 Depth=1
	s_or_b32 exec_lo, exec_lo, s22
	s_lshl_b64 s[18:19], s[18:19], 12
	v_cmp_gt_u64_e64 vcc_lo, s[12:13], 56
	v_or_b32_e32 v5, v2, v31
	v_add_co_u32 v27, s5, v27, s18
	v_add_co_ci_u32_e64 v28, s5, s19, v28, s5
	s_lshl_b32 s5, s14, 2
	v_or_b32_e32 v4, 0, v3
	v_cndmask_b32_e32 v2, v5, v2, vcc_lo
	s_add_i32 s5, s5, 28
	v_readfirstlane_b32 s18, v27
	s_and_b32 s5, s5, 0x1e0
	v_cndmask_b32_e32 v10, v4, v3, vcc_lo
	v_readfirstlane_b32 s19, v28
	v_and_or_b32 v9, 0xffffff1f, v2, s5
	global_store_dwordx4 v36, v[9:12], s[18:19]
	global_store_dwordx4 v36, v[13:16], s[18:19] offset:16
	global_store_dwordx4 v36, v[17:20], s[18:19] offset:32
	;; [unrolled: 1-line block ×3, first 2 shown]
	s_and_saveexec_b32 s5, s4
	s_cbranch_execz .LBB4_347
; %bb.340:                              ;   in Loop: Header=BB4_282 Depth=1
	s_clause 0x1
	global_load_dwordx2 v[13:14], v6, s[26:27] offset:32 glc dlc
	global_load_dwordx2 v[2:3], v6, s[26:27] offset:40
	v_mov_b32_e32 v11, s16
	v_mov_b32_e32 v12, s17
	s_waitcnt vmcnt(0)
	v_readfirstlane_b32 s18, v2
	v_readfirstlane_b32 s19, v3
	s_and_b64 s[18:19], s[18:19], s[16:17]
	s_mul_i32 s19, s19, 24
	s_mul_hi_u32 s22, s18, 24
	s_mul_i32 s18, s18, 24
	s_add_i32 s22, s22, s19
	v_add_co_u32 v9, vcc_lo, v25, s18
	v_add_co_ci_u32_e32 v10, vcc_lo, s22, v26, vcc_lo
	s_mov_b32 s18, exec_lo
	global_store_dwordx2 v[9:10], v[13:14], off
	s_waitcnt_vscnt null, 0x0
	global_atomic_cmpswap_x2 v[4:5], v6, v[11:14], s[26:27] offset:32 glc
	s_waitcnt vmcnt(0)
	v_cmpx_ne_u64_e64 v[4:5], v[13:14]
	s_cbranch_execz .LBB4_343
; %bb.341:                              ;   in Loop: Header=BB4_282 Depth=1
	s_mov_b32 s19, 0
.LBB4_342:                              ;   Parent Loop BB4_282 Depth=1
                                        ; =>  This Inner Loop Header: Depth=2
	v_mov_b32_e32 v2, s16
	v_mov_b32_e32 v3, s17
	s_sleep 1
	global_store_dwordx2 v[9:10], v[4:5], off
	s_waitcnt_vscnt null, 0x0
	global_atomic_cmpswap_x2 v[2:3], v6, v[2:5], s[26:27] offset:32 glc
	s_waitcnt vmcnt(0)
	v_cmp_eq_u64_e32 vcc_lo, v[2:3], v[4:5]
	v_mov_b32_e32 v5, v3
	v_mov_b32_e32 v4, v2
	s_or_b32 s19, vcc_lo, s19
	s_andn2_b32 exec_lo, exec_lo, s19
	s_cbranch_execnz .LBB4_342
.LBB4_343:                              ;   in Loop: Header=BB4_282 Depth=1
	s_or_b32 exec_lo, exec_lo, s18
	global_load_dwordx2 v[2:3], v6, s[26:27] offset:16
	s_mov_b32 s19, exec_lo
	s_mov_b32 s18, exec_lo
	v_mbcnt_lo_u32_b32 v4, s19, 0
	v_cmpx_eq_u32_e32 0, v4
	s_cbranch_execz .LBB4_345
; %bb.344:                              ;   in Loop: Header=BB4_282 Depth=1
	s_bcnt1_i32_b32 s19, s19
	v_mov_b32_e32 v5, s19
	s_waitcnt vmcnt(0)
	global_atomic_add_x2 v[2:3], v[5:6], off offset:8
.LBB4_345:                              ;   in Loop: Header=BB4_282 Depth=1
	s_or_b32 exec_lo, exec_lo, s18
	s_waitcnt vmcnt(0)
	global_load_dwordx2 v[9:10], v[2:3], off offset:16
	s_waitcnt vmcnt(0)
	v_cmp_eq_u64_e32 vcc_lo, 0, v[9:10]
	s_cbranch_vccnz .LBB4_347
; %bb.346:                              ;   in Loop: Header=BB4_282 Depth=1
	global_load_dword v5, v[2:3], off offset:24
	s_waitcnt vmcnt(0)
	v_and_b32_e32 v2, 0x7fffff, v5
	s_waitcnt_vscnt null, 0x0
	global_store_dwordx2 v[9:10], v[5:6], off
	v_readfirstlane_b32 m0, v2
	s_sendmsg sendmsg(MSG_INTERRUPT)
.LBB4_347:                              ;   in Loop: Header=BB4_282 Depth=1
	s_or_b32 exec_lo, exec_lo, s5
	v_add_co_u32 v2, vcc_lo, v27, v36
	v_add_co_ci_u32_e32 v3, vcc_lo, 0, v28, vcc_lo
	s_branch .LBB4_351
	.p2align	6
.LBB4_348:                              ;   in Loop: Header=BB4_351 Depth=2
	s_or_b32 exec_lo, exec_lo, s5
	v_readfirstlane_b32 s5, v4
	s_cmp_eq_u32 s5, 0
	s_cbranch_scc1 .LBB4_350
; %bb.349:                              ;   in Loop: Header=BB4_351 Depth=2
	s_sleep 1
	s_cbranch_execnz .LBB4_351
	s_branch .LBB4_353
	.p2align	6
.LBB4_350:                              ;   in Loop: Header=BB4_282 Depth=1
	s_branch .LBB4_353
.LBB4_351:                              ;   Parent Loop BB4_282 Depth=1
                                        ; =>  This Inner Loop Header: Depth=2
	v_mov_b32_e32 v4, 1
	s_and_saveexec_b32 s5, s4
	s_cbranch_execz .LBB4_348
; %bb.352:                              ;   in Loop: Header=BB4_351 Depth=2
	global_load_dword v4, v[29:30], off offset:20 glc dlc
	s_waitcnt vmcnt(0)
	buffer_gl1_inv
	buffer_gl0_inv
	v_and_b32_e32 v4, 1, v4
	s_branch .LBB4_348
.LBB4_353:                              ;   in Loop: Header=BB4_282 Depth=1
	global_load_dwordx4 v[2:5], v[2:3], off
	s_and_saveexec_b32 s5, s4
	s_cbranch_execz .LBB4_281
; %bb.354:                              ;   in Loop: Header=BB4_282 Depth=1
	s_clause 0x2
	global_load_dwordx2 v[4:5], v6, s[26:27] offset:40
	global_load_dwordx2 v[13:14], v6, s[26:27] offset:24 glc dlc
	global_load_dwordx2 v[11:12], v6, s[26:27]
	s_waitcnt vmcnt(2)
	v_add_co_u32 v15, vcc_lo, v4, 1
	v_add_co_ci_u32_e32 v16, vcc_lo, 0, v5, vcc_lo
	v_add_co_u32 v9, vcc_lo, v15, s16
	v_add_co_ci_u32_e32 v10, vcc_lo, s17, v16, vcc_lo
	v_cmp_eq_u64_e32 vcc_lo, 0, v[9:10]
	v_cndmask_b32_e32 v10, v10, v16, vcc_lo
	v_cndmask_b32_e32 v9, v9, v15, vcc_lo
	v_and_b32_e32 v5, v10, v5
	v_and_b32_e32 v4, v9, v4
	v_mul_lo_u32 v5, v5, 24
	v_mul_hi_u32 v15, v4, 24
	v_mul_lo_u32 v4, v4, 24
	v_add_nc_u32_e32 v5, v15, v5
	s_waitcnt vmcnt(0)
	v_add_co_u32 v4, vcc_lo, v11, v4
	v_mov_b32_e32 v11, v13
	v_add_co_ci_u32_e32 v5, vcc_lo, v12, v5, vcc_lo
	v_mov_b32_e32 v12, v14
	global_store_dwordx2 v[4:5], v[13:14], off
	s_waitcnt_vscnt null, 0x0
	global_atomic_cmpswap_x2 v[11:12], v6, v[9:12], s[26:27] offset:24 glc
	s_waitcnt vmcnt(0)
	v_cmp_ne_u64_e32 vcc_lo, v[11:12], v[13:14]
	s_and_b32 exec_lo, exec_lo, vcc_lo
	s_cbranch_execz .LBB4_281
; %bb.355:                              ;   in Loop: Header=BB4_282 Depth=1
	s_mov_b32 s4, 0
.LBB4_356:                              ;   Parent Loop BB4_282 Depth=1
                                        ; =>  This Inner Loop Header: Depth=2
	s_sleep 1
	global_store_dwordx2 v[4:5], v[11:12], off
	s_waitcnt_vscnt null, 0x0
	global_atomic_cmpswap_x2 v[13:14], v6, v[9:12], s[26:27] offset:24 glc
	s_waitcnt vmcnt(0)
	v_cmp_eq_u64_e32 vcc_lo, v[13:14], v[11:12]
	v_mov_b32_e32 v11, v13
	v_mov_b32_e32 v12, v14
	s_or_b32 s4, vcc_lo, s4
	s_andn2_b32 exec_lo, exec_lo, s4
	s_cbranch_execnz .LBB4_356
	s_branch .LBB4_281
.LBB4_357:
	s_branch .LBB4_386
.LBB4_358:
                                        ; implicit-def: $vgpr2_vgpr3
	s_cbranch_execz .LBB4_386
; %bb.359:
	v_readfirstlane_b32 s4, v37
	v_mov_b32_e32 v8, 0
	v_mov_b32_e32 v9, 0
	v_cmp_eq_u32_e64 s4, s4, v37
	s_and_saveexec_b32 s5, s4
	s_cbranch_execz .LBB4_365
; %bb.360:
	s_waitcnt vmcnt(0)
	v_mov_b32_e32 v2, 0
	s_mov_b32 s8, exec_lo
	global_load_dwordx2 v[5:6], v2, s[26:27] offset:24 glc dlc
	s_waitcnt vmcnt(0)
	buffer_gl1_inv
	buffer_gl0_inv
	s_clause 0x1
	global_load_dwordx2 v[3:4], v2, s[26:27] offset:40
	global_load_dwordx2 v[7:8], v2, s[26:27]
	s_waitcnt vmcnt(1)
	v_and_b32_e32 v4, v4, v6
	v_and_b32_e32 v3, v3, v5
	v_mul_lo_u32 v4, v4, 24
	v_mul_hi_u32 v9, v3, 24
	v_mul_lo_u32 v3, v3, 24
	v_add_nc_u32_e32 v4, v9, v4
	s_waitcnt vmcnt(0)
	v_add_co_u32 v3, vcc_lo, v7, v3
	v_add_co_ci_u32_e32 v4, vcc_lo, v8, v4, vcc_lo
	global_load_dwordx2 v[3:4], v[3:4], off glc dlc
	s_waitcnt vmcnt(0)
	global_atomic_cmpswap_x2 v[8:9], v2, v[3:6], s[26:27] offset:24 glc
	s_waitcnt vmcnt(0)
	buffer_gl1_inv
	buffer_gl0_inv
	v_cmpx_ne_u64_e64 v[8:9], v[5:6]
	s_cbranch_execz .LBB4_364
; %bb.361:
	s_mov_b32 s9, 0
.LBB4_362:                              ; =>This Inner Loop Header: Depth=1
	s_sleep 1
	s_clause 0x1
	global_load_dwordx2 v[3:4], v2, s[26:27] offset:40
	global_load_dwordx2 v[10:11], v2, s[26:27]
	v_mov_b32_e32 v5, v8
	v_mov_b32_e32 v6, v9
	s_waitcnt vmcnt(1)
	v_and_b32_e32 v3, v3, v5
	v_and_b32_e32 v4, v4, v6
	s_waitcnt vmcnt(0)
	v_mad_u64_u32 v[7:8], null, v3, 24, v[10:11]
	v_mov_b32_e32 v3, v8
	v_mad_u64_u32 v[3:4], null, v4, 24, v[3:4]
	v_mov_b32_e32 v8, v3
	global_load_dwordx2 v[3:4], v[7:8], off glc dlc
	s_waitcnt vmcnt(0)
	global_atomic_cmpswap_x2 v[8:9], v2, v[3:6], s[26:27] offset:24 glc
	s_waitcnt vmcnt(0)
	buffer_gl1_inv
	buffer_gl0_inv
	v_cmp_eq_u64_e32 vcc_lo, v[8:9], v[5:6]
	s_or_b32 s9, vcc_lo, s9
	s_andn2_b32 exec_lo, exec_lo, s9
	s_cbranch_execnz .LBB4_362
; %bb.363:
	s_or_b32 exec_lo, exec_lo, s9
.LBB4_364:
	s_or_b32 exec_lo, exec_lo, s8
.LBB4_365:
	s_or_b32 exec_lo, exec_lo, s5
	s_waitcnt vmcnt(0)
	v_mov_b32_e32 v2, 0
	v_readfirstlane_b32 s8, v8
	v_readfirstlane_b32 s9, v9
	s_mov_b32 s5, exec_lo
	s_clause 0x1
	global_load_dwordx2 v[10:11], v2, s[26:27] offset:40
	global_load_dwordx4 v[4:7], v2, s[26:27]
	s_waitcnt vmcnt(1)
	v_readfirstlane_b32 s12, v10
	v_readfirstlane_b32 s13, v11
	s_and_b64 s[12:13], s[8:9], s[12:13]
	s_mul_i32 s14, s13, 24
	s_mul_hi_u32 s15, s12, 24
	s_mul_i32 s16, s12, 24
	s_add_i32 s15, s15, s14
	s_waitcnt vmcnt(0)
	v_add_co_u32 v8, vcc_lo, v4, s16
	v_add_co_ci_u32_e32 v9, vcc_lo, s15, v5, vcc_lo
	s_and_saveexec_b32 s14, s4
	s_cbranch_execz .LBB4_367
; %bb.366:
	v_mov_b32_e32 v10, s5
	v_mov_b32_e32 v11, v2
	;; [unrolled: 1-line block ×4, first 2 shown]
	global_store_dwordx4 v[8:9], v[10:13], off offset:8
.LBB4_367:
	s_or_b32 exec_lo, exec_lo, s14
	s_lshl_b64 s[12:13], s[12:13], 12
	v_and_or_b32 v0, 0xffffff1f, v0, 32
	v_add_co_u32 v6, vcc_lo, v6, s12
	v_add_co_ci_u32_e32 v7, vcc_lo, s13, v7, vcc_lo
	s_mov_b32 s12, 0
	v_readfirstlane_b32 s16, v6
	v_add_co_u32 v6, vcc_lo, v6, v36
	s_mov_b32 s13, s12
	s_mov_b32 s14, s12
	;; [unrolled: 1-line block ×3, first 2 shown]
	v_mov_b32_e32 v3, v2
	v_readfirstlane_b32 s17, v7
	v_mov_b32_e32 v10, s12
	v_add_co_ci_u32_e32 v7, vcc_lo, 0, v7, vcc_lo
	v_mov_b32_e32 v11, s13
	v_mov_b32_e32 v12, s14
	;; [unrolled: 1-line block ×3, first 2 shown]
	global_store_dwordx4 v36, v[0:3], s[16:17]
	global_store_dwordx4 v36, v[10:13], s[16:17] offset:16
	global_store_dwordx4 v36, v[10:13], s[16:17] offset:32
	;; [unrolled: 1-line block ×3, first 2 shown]
	s_and_saveexec_b32 s5, s4
	s_cbranch_execz .LBB4_375
; %bb.368:
	v_mov_b32_e32 v10, 0
	v_mov_b32_e32 v11, s8
	;; [unrolled: 1-line block ×3, first 2 shown]
	s_clause 0x1
	global_load_dwordx2 v[13:14], v10, s[26:27] offset:32 glc dlc
	global_load_dwordx2 v[0:1], v10, s[26:27] offset:40
	s_waitcnt vmcnt(0)
	v_readfirstlane_b32 s12, v0
	v_readfirstlane_b32 s13, v1
	s_and_b64 s[12:13], s[12:13], s[8:9]
	s_mul_i32 s13, s13, 24
	s_mul_hi_u32 s14, s12, 24
	s_mul_i32 s12, s12, 24
	s_add_i32 s14, s14, s13
	v_add_co_u32 v4, vcc_lo, v4, s12
	v_add_co_ci_u32_e32 v5, vcc_lo, s14, v5, vcc_lo
	s_mov_b32 s12, exec_lo
	global_store_dwordx2 v[4:5], v[13:14], off
	s_waitcnt_vscnt null, 0x0
	global_atomic_cmpswap_x2 v[2:3], v10, v[11:14], s[26:27] offset:32 glc
	s_waitcnt vmcnt(0)
	v_cmpx_ne_u64_e64 v[2:3], v[13:14]
	s_cbranch_execz .LBB4_371
; %bb.369:
	s_mov_b32 s13, 0
.LBB4_370:                              ; =>This Inner Loop Header: Depth=1
	v_mov_b32_e32 v0, s8
	v_mov_b32_e32 v1, s9
	s_sleep 1
	global_store_dwordx2 v[4:5], v[2:3], off
	s_waitcnt_vscnt null, 0x0
	global_atomic_cmpswap_x2 v[0:1], v10, v[0:3], s[26:27] offset:32 glc
	s_waitcnt vmcnt(0)
	v_cmp_eq_u64_e32 vcc_lo, v[0:1], v[2:3]
	v_mov_b32_e32 v3, v1
	v_mov_b32_e32 v2, v0
	s_or_b32 s13, vcc_lo, s13
	s_andn2_b32 exec_lo, exec_lo, s13
	s_cbranch_execnz .LBB4_370
.LBB4_371:
	s_or_b32 exec_lo, exec_lo, s12
	v_mov_b32_e32 v3, 0
	s_mov_b32 s13, exec_lo
	s_mov_b32 s12, exec_lo
	v_mbcnt_lo_u32_b32 v2, s13, 0
	global_load_dwordx2 v[0:1], v3, s[26:27] offset:16
	v_cmpx_eq_u32_e32 0, v2
	s_cbranch_execz .LBB4_373
; %bb.372:
	s_bcnt1_i32_b32 s13, s13
	v_mov_b32_e32 v2, s13
	s_waitcnt vmcnt(0)
	global_atomic_add_x2 v[0:1], v[2:3], off offset:8
.LBB4_373:
	s_or_b32 exec_lo, exec_lo, s12
	s_waitcnt vmcnt(0)
	global_load_dwordx2 v[2:3], v[0:1], off offset:16
	s_waitcnt vmcnt(0)
	v_cmp_eq_u64_e32 vcc_lo, 0, v[2:3]
	s_cbranch_vccnz .LBB4_375
; %bb.374:
	global_load_dword v0, v[0:1], off offset:24
	v_mov_b32_e32 v1, 0
	s_waitcnt vmcnt(0)
	v_and_b32_e32 v4, 0x7fffff, v0
	s_waitcnt_vscnt null, 0x0
	global_store_dwordx2 v[2:3], v[0:1], off
	v_readfirstlane_b32 m0, v4
	s_sendmsg sendmsg(MSG_INTERRUPT)
.LBB4_375:
	s_or_b32 exec_lo, exec_lo, s5
	s_branch .LBB4_379
	.p2align	6
.LBB4_376:                              ;   in Loop: Header=BB4_379 Depth=1
	s_or_b32 exec_lo, exec_lo, s5
	v_readfirstlane_b32 s5, v0
	s_cmp_eq_u32 s5, 0
	s_cbranch_scc1 .LBB4_378
; %bb.377:                              ;   in Loop: Header=BB4_379 Depth=1
	s_sleep 1
	s_cbranch_execnz .LBB4_379
	s_branch .LBB4_381
	.p2align	6
.LBB4_378:
	s_branch .LBB4_381
.LBB4_379:                              ; =>This Inner Loop Header: Depth=1
	v_mov_b32_e32 v0, 1
	s_and_saveexec_b32 s5, s4
	s_cbranch_execz .LBB4_376
; %bb.380:                              ;   in Loop: Header=BB4_379 Depth=1
	global_load_dword v0, v[8:9], off offset:20 glc dlc
	s_waitcnt vmcnt(0)
	buffer_gl1_inv
	buffer_gl0_inv
	v_and_b32_e32 v0, 1, v0
	s_branch .LBB4_376
.LBB4_381:
	global_load_dwordx2 v[2:3], v[6:7], off
	s_and_saveexec_b32 s5, s4
	s_cbranch_execz .LBB4_385
; %bb.382:
	v_mov_b32_e32 v8, 0
	s_clause 0x2
	global_load_dwordx2 v[0:1], v8, s[26:27] offset:40
	global_load_dwordx2 v[9:10], v8, s[26:27] offset:24 glc dlc
	global_load_dwordx2 v[6:7], v8, s[26:27]
	s_waitcnt vmcnt(2)
	v_add_co_u32 v11, vcc_lo, v0, 1
	v_add_co_ci_u32_e32 v12, vcc_lo, 0, v1, vcc_lo
	v_add_co_u32 v4, vcc_lo, v11, s8
	v_add_co_ci_u32_e32 v5, vcc_lo, s9, v12, vcc_lo
	v_cmp_eq_u64_e32 vcc_lo, 0, v[4:5]
	v_cndmask_b32_e32 v5, v5, v12, vcc_lo
	v_cndmask_b32_e32 v4, v4, v11, vcc_lo
	v_and_b32_e32 v1, v5, v1
	v_and_b32_e32 v0, v4, v0
	v_mul_lo_u32 v1, v1, 24
	v_mul_hi_u32 v11, v0, 24
	v_mul_lo_u32 v0, v0, 24
	v_add_nc_u32_e32 v1, v11, v1
	s_waitcnt vmcnt(0)
	v_add_co_u32 v0, vcc_lo, v6, v0
	v_mov_b32_e32 v6, v9
	v_add_co_ci_u32_e32 v1, vcc_lo, v7, v1, vcc_lo
	v_mov_b32_e32 v7, v10
	global_store_dwordx2 v[0:1], v[9:10], off
	s_waitcnt_vscnt null, 0x0
	global_atomic_cmpswap_x2 v[6:7], v8, v[4:7], s[26:27] offset:24 glc
	s_waitcnt vmcnt(0)
	v_cmp_ne_u64_e32 vcc_lo, v[6:7], v[9:10]
	s_and_b32 exec_lo, exec_lo, vcc_lo
	s_cbranch_execz .LBB4_385
; %bb.383:
	s_mov_b32 s4, 0
.LBB4_384:                              ; =>This Inner Loop Header: Depth=1
	s_sleep 1
	global_store_dwordx2 v[0:1], v[6:7], off
	s_waitcnt_vscnt null, 0x0
	global_atomic_cmpswap_x2 v[9:10], v8, v[4:7], s[26:27] offset:24 glc
	s_waitcnt vmcnt(0)
	v_cmp_eq_u64_e32 vcc_lo, v[9:10], v[6:7]
	v_mov_b32_e32 v6, v9
	v_mov_b32_e32 v7, v10
	s_or_b32 s4, vcc_lo, s4
	s_andn2_b32 exec_lo, exec_lo, s4
	s_cbranch_execnz .LBB4_384
.LBB4_385:
	s_or_b32 exec_lo, exec_lo, s5
.LBB4_386:
	v_readfirstlane_b32 s4, v37
	s_waitcnt vmcnt(0)
	v_mov_b32_e32 v0, 0
	v_mov_b32_e32 v1, 0
	v_cmp_eq_u32_e64 s4, s4, v37
	s_and_saveexec_b32 s5, s4
	s_cbranch_execz .LBB4_392
; %bb.387:
	v_mov_b32_e32 v4, 0
	s_mov_b32 s8, exec_lo
	global_load_dwordx2 v[7:8], v4, s[26:27] offset:24 glc dlc
	s_waitcnt vmcnt(0)
	buffer_gl1_inv
	buffer_gl0_inv
	s_clause 0x1
	global_load_dwordx2 v[0:1], v4, s[26:27] offset:40
	global_load_dwordx2 v[5:6], v4, s[26:27]
	s_waitcnt vmcnt(1)
	v_and_b32_e32 v1, v1, v8
	v_and_b32_e32 v0, v0, v7
	v_mul_lo_u32 v1, v1, 24
	v_mul_hi_u32 v9, v0, 24
	v_mul_lo_u32 v0, v0, 24
	v_add_nc_u32_e32 v1, v9, v1
	s_waitcnt vmcnt(0)
	v_add_co_u32 v0, vcc_lo, v5, v0
	v_add_co_ci_u32_e32 v1, vcc_lo, v6, v1, vcc_lo
	global_load_dwordx2 v[5:6], v[0:1], off glc dlc
	s_waitcnt vmcnt(0)
	global_atomic_cmpswap_x2 v[0:1], v4, v[5:8], s[26:27] offset:24 glc
	s_waitcnt vmcnt(0)
	buffer_gl1_inv
	buffer_gl0_inv
	v_cmpx_ne_u64_e64 v[0:1], v[7:8]
	s_cbranch_execz .LBB4_391
; %bb.388:
	s_mov_b32 s9, 0
	.p2align	6
.LBB4_389:                              ; =>This Inner Loop Header: Depth=1
	s_sleep 1
	s_clause 0x1
	global_load_dwordx2 v[5:6], v4, s[26:27] offset:40
	global_load_dwordx2 v[9:10], v4, s[26:27]
	v_mov_b32_e32 v8, v1
	v_mov_b32_e32 v7, v0
	s_waitcnt vmcnt(1)
	v_and_b32_e32 v0, v5, v7
	v_and_b32_e32 v5, v6, v8
	s_waitcnt vmcnt(0)
	v_mad_u64_u32 v[0:1], null, v0, 24, v[9:10]
	v_mad_u64_u32 v[5:6], null, v5, 24, v[1:2]
	v_mov_b32_e32 v1, v5
	global_load_dwordx2 v[5:6], v[0:1], off glc dlc
	s_waitcnt vmcnt(0)
	global_atomic_cmpswap_x2 v[0:1], v4, v[5:8], s[26:27] offset:24 glc
	s_waitcnt vmcnt(0)
	buffer_gl1_inv
	buffer_gl0_inv
	v_cmp_eq_u64_e32 vcc_lo, v[0:1], v[7:8]
	s_or_b32 s9, vcc_lo, s9
	s_andn2_b32 exec_lo, exec_lo, s9
	s_cbranch_execnz .LBB4_389
; %bb.390:
	s_or_b32 exec_lo, exec_lo, s9
.LBB4_391:
	s_or_b32 exec_lo, exec_lo, s8
.LBB4_392:
	s_or_b32 exec_lo, exec_lo, s5
	v_mov_b32_e32 v5, 0
	v_readfirstlane_b32 s8, v0
	v_readfirstlane_b32 s9, v1
	s_mov_b32 s5, exec_lo
	s_clause 0x1
	global_load_dwordx2 v[10:11], v5, s[26:27] offset:40
	global_load_dwordx4 v[6:9], v5, s[26:27]
	s_waitcnt vmcnt(1)
	v_readfirstlane_b32 s12, v10
	v_readfirstlane_b32 s13, v11
	s_and_b64 s[12:13], s[8:9], s[12:13]
	s_mul_i32 s14, s13, 24
	s_mul_hi_u32 s15, s12, 24
	s_mul_i32 s16, s12, 24
	s_add_i32 s15, s15, s14
	s_waitcnt vmcnt(0)
	v_add_co_u32 v10, vcc_lo, v6, s16
	v_add_co_ci_u32_e32 v11, vcc_lo, s15, v7, vcc_lo
	s_and_saveexec_b32 s14, s4
	s_cbranch_execz .LBB4_394
; %bb.393:
	v_mov_b32_e32 v4, s5
	v_mov_b32_e32 v13, v5
	;; [unrolled: 1-line block ×5, first 2 shown]
	global_store_dwordx4 v[10:11], v[12:15], off offset:8
.LBB4_394:
	s_or_b32 exec_lo, exec_lo, s14
	s_lshl_b64 s[12:13], s[12:13], 12
	v_and_or_b32 v2, 0xffffff1d, v2, 34
	v_add_co_u32 v0, vcc_lo, v8, s12
	v_add_co_ci_u32_e32 v1, vcc_lo, s13, v9, vcc_lo
	s_mov_b32 s12, 0
	v_mov_b32_e32 v4, 10
	s_mov_b32 s13, s12
	s_mov_b32 s14, s12
	;; [unrolled: 1-line block ×3, first 2 shown]
	v_readfirstlane_b32 s16, v0
	v_readfirstlane_b32 s17, v1
	v_mov_b32_e32 v12, s12
	v_mov_b32_e32 v13, s13
	;; [unrolled: 1-line block ×4, first 2 shown]
	global_store_dwordx4 v36, v[2:5], s[16:17]
	global_store_dwordx4 v36, v[12:15], s[16:17] offset:16
	global_store_dwordx4 v36, v[12:15], s[16:17] offset:32
	;; [unrolled: 1-line block ×3, first 2 shown]
	s_and_saveexec_b32 s5, s4
	s_cbranch_execz .LBB4_402
; %bb.395:
	v_mov_b32_e32 v8, 0
	v_mov_b32_e32 v12, s8
	;; [unrolled: 1-line block ×3, first 2 shown]
	s_clause 0x1
	global_load_dwordx2 v[14:15], v8, s[26:27] offset:32 glc dlc
	global_load_dwordx2 v[0:1], v8, s[26:27] offset:40
	s_waitcnt vmcnt(0)
	v_readfirstlane_b32 s12, v0
	v_readfirstlane_b32 s13, v1
	s_and_b64 s[12:13], s[12:13], s[8:9]
	s_mul_i32 s13, s13, 24
	s_mul_hi_u32 s14, s12, 24
	s_mul_i32 s12, s12, 24
	s_add_i32 s14, s14, s13
	v_add_co_u32 v4, vcc_lo, v6, s12
	v_add_co_ci_u32_e32 v5, vcc_lo, s14, v7, vcc_lo
	s_mov_b32 s12, exec_lo
	global_store_dwordx2 v[4:5], v[14:15], off
	s_waitcnt_vscnt null, 0x0
	global_atomic_cmpswap_x2 v[2:3], v8, v[12:15], s[26:27] offset:32 glc
	s_waitcnt vmcnt(0)
	v_cmpx_ne_u64_e64 v[2:3], v[14:15]
	s_cbranch_execz .LBB4_398
; %bb.396:
	s_mov_b32 s13, 0
.LBB4_397:                              ; =>This Inner Loop Header: Depth=1
	v_mov_b32_e32 v0, s8
	v_mov_b32_e32 v1, s9
	s_sleep 1
	global_store_dwordx2 v[4:5], v[2:3], off
	s_waitcnt_vscnt null, 0x0
	global_atomic_cmpswap_x2 v[0:1], v8, v[0:3], s[26:27] offset:32 glc
	s_waitcnt vmcnt(0)
	v_cmp_eq_u64_e32 vcc_lo, v[0:1], v[2:3]
	v_mov_b32_e32 v3, v1
	v_mov_b32_e32 v2, v0
	s_or_b32 s13, vcc_lo, s13
	s_andn2_b32 exec_lo, exec_lo, s13
	s_cbranch_execnz .LBB4_397
.LBB4_398:
	s_or_b32 exec_lo, exec_lo, s12
	v_mov_b32_e32 v3, 0
	s_mov_b32 s13, exec_lo
	s_mov_b32 s12, exec_lo
	v_mbcnt_lo_u32_b32 v2, s13, 0
	global_load_dwordx2 v[0:1], v3, s[26:27] offset:16
	v_cmpx_eq_u32_e32 0, v2
	s_cbranch_execz .LBB4_400
; %bb.399:
	s_bcnt1_i32_b32 s13, s13
	v_mov_b32_e32 v2, s13
	s_waitcnt vmcnt(0)
	global_atomic_add_x2 v[0:1], v[2:3], off offset:8
.LBB4_400:
	s_or_b32 exec_lo, exec_lo, s12
	s_waitcnt vmcnt(0)
	global_load_dwordx2 v[2:3], v[0:1], off offset:16
	s_waitcnt vmcnt(0)
	v_cmp_eq_u64_e32 vcc_lo, 0, v[2:3]
	s_cbranch_vccnz .LBB4_402
; %bb.401:
	global_load_dword v0, v[0:1], off offset:24
	v_mov_b32_e32 v1, 0
	s_waitcnt vmcnt(0)
	v_and_b32_e32 v4, 0x7fffff, v0
	s_waitcnt_vscnt null, 0x0
	global_store_dwordx2 v[2:3], v[0:1], off
	v_readfirstlane_b32 m0, v4
	s_sendmsg sendmsg(MSG_INTERRUPT)
.LBB4_402:
	s_or_b32 exec_lo, exec_lo, s5
	s_branch .LBB4_406
	.p2align	6
.LBB4_403:                              ;   in Loop: Header=BB4_406 Depth=1
	s_or_b32 exec_lo, exec_lo, s5
	v_readfirstlane_b32 s5, v0
	s_cmp_eq_u32 s5, 0
	s_cbranch_scc1 .LBB4_405
; %bb.404:                              ;   in Loop: Header=BB4_406 Depth=1
	s_sleep 1
	s_cbranch_execnz .LBB4_406
	s_branch .LBB4_408
	.p2align	6
.LBB4_405:
	s_branch .LBB4_408
.LBB4_406:                              ; =>This Inner Loop Header: Depth=1
	v_mov_b32_e32 v0, 1
	s_and_saveexec_b32 s5, s4
	s_cbranch_execz .LBB4_403
; %bb.407:                              ;   in Loop: Header=BB4_406 Depth=1
	global_load_dword v0, v[10:11], off offset:20 glc dlc
	s_waitcnt vmcnt(0)
	buffer_gl1_inv
	buffer_gl0_inv
	v_and_b32_e32 v0, 1, v0
	s_branch .LBB4_403
.LBB4_408:
	s_and_saveexec_b32 s5, s4
	s_cbranch_execz .LBB4_412
; %bb.409:
	v_mov_b32_e32 v6, 0
	s_clause 0x2
	global_load_dwordx2 v[2:3], v6, s[26:27] offset:40
	global_load_dwordx2 v[7:8], v6, s[26:27] offset:24 glc dlc
	global_load_dwordx2 v[4:5], v6, s[26:27]
	s_waitcnt vmcnt(2)
	v_add_co_u32 v9, vcc_lo, v2, 1
	v_add_co_ci_u32_e32 v10, vcc_lo, 0, v3, vcc_lo
	v_add_co_u32 v0, vcc_lo, v9, s8
	v_add_co_ci_u32_e32 v1, vcc_lo, s9, v10, vcc_lo
	v_cmp_eq_u64_e32 vcc_lo, 0, v[0:1]
	v_cndmask_b32_e32 v1, v1, v10, vcc_lo
	v_cndmask_b32_e32 v0, v0, v9, vcc_lo
	v_and_b32_e32 v3, v1, v3
	v_and_b32_e32 v2, v0, v2
	v_mul_lo_u32 v3, v3, 24
	v_mul_hi_u32 v9, v2, 24
	v_mul_lo_u32 v2, v2, 24
	v_add_nc_u32_e32 v3, v9, v3
	s_waitcnt vmcnt(0)
	v_add_co_u32 v4, vcc_lo, v4, v2
	v_mov_b32_e32 v2, v7
	v_add_co_ci_u32_e32 v5, vcc_lo, v5, v3, vcc_lo
	v_mov_b32_e32 v3, v8
	global_store_dwordx2 v[4:5], v[7:8], off
	s_waitcnt_vscnt null, 0x0
	global_atomic_cmpswap_x2 v[2:3], v6, v[0:3], s[26:27] offset:24 glc
	s_waitcnt vmcnt(0)
	v_cmp_ne_u64_e32 vcc_lo, v[2:3], v[7:8]
	s_and_b32 exec_lo, exec_lo, vcc_lo
	s_cbranch_execz .LBB4_412
; %bb.410:
	s_mov_b32 s4, 0
.LBB4_411:                              ; =>This Inner Loop Header: Depth=1
	s_sleep 1
	global_store_dwordx2 v[4:5], v[2:3], off
	s_waitcnt_vscnt null, 0x0
	global_atomic_cmpswap_x2 v[7:8], v6, v[0:3], s[26:27] offset:24 glc
	s_waitcnt vmcnt(0)
	v_cmp_eq_u64_e32 vcc_lo, v[7:8], v[2:3]
	v_mov_b32_e32 v2, v7
	v_mov_b32_e32 v3, v8
	s_or_b32 s4, vcc_lo, s4
	s_andn2_b32 exec_lo, exec_lo, s4
	s_cbranch_execnz .LBB4_411
.LBB4_412:
	s_or_b32 exec_lo, exec_lo, s5
	v_readfirstlane_b32 s4, v37
	v_mov_b32_e32 v6, 0
	v_mov_b32_e32 v7, 0
	v_cmp_eq_u32_e64 s4, s4, v37
	s_and_saveexec_b32 s5, s4
	s_cbranch_execz .LBB4_418
; %bb.413:
	v_mov_b32_e32 v0, 0
	s_mov_b32 s8, exec_lo
	global_load_dwordx2 v[3:4], v0, s[26:27] offset:24 glc dlc
	s_waitcnt vmcnt(0)
	buffer_gl1_inv
	buffer_gl0_inv
	s_clause 0x1
	global_load_dwordx2 v[1:2], v0, s[26:27] offset:40
	global_load_dwordx2 v[5:6], v0, s[26:27]
	s_waitcnt vmcnt(1)
	v_and_b32_e32 v2, v2, v4
	v_and_b32_e32 v1, v1, v3
	v_mul_lo_u32 v2, v2, 24
	v_mul_hi_u32 v7, v1, 24
	v_mul_lo_u32 v1, v1, 24
	v_add_nc_u32_e32 v2, v7, v2
	s_waitcnt vmcnt(0)
	v_add_co_u32 v1, vcc_lo, v5, v1
	v_add_co_ci_u32_e32 v2, vcc_lo, v6, v2, vcc_lo
	global_load_dwordx2 v[1:2], v[1:2], off glc dlc
	s_waitcnt vmcnt(0)
	global_atomic_cmpswap_x2 v[6:7], v0, v[1:4], s[26:27] offset:24 glc
	s_waitcnt vmcnt(0)
	buffer_gl1_inv
	buffer_gl0_inv
	v_cmpx_ne_u64_e64 v[6:7], v[3:4]
	s_cbranch_execz .LBB4_417
; %bb.414:
	s_mov_b32 s9, 0
	.p2align	6
.LBB4_415:                              ; =>This Inner Loop Header: Depth=1
	s_sleep 1
	s_clause 0x1
	global_load_dwordx2 v[1:2], v0, s[26:27] offset:40
	global_load_dwordx2 v[8:9], v0, s[26:27]
	v_mov_b32_e32 v3, v6
	v_mov_b32_e32 v4, v7
	s_waitcnt vmcnt(1)
	v_and_b32_e32 v1, v1, v3
	v_and_b32_e32 v2, v2, v4
	s_waitcnt vmcnt(0)
	v_mad_u64_u32 v[5:6], null, v1, 24, v[8:9]
	v_mov_b32_e32 v1, v6
	v_mad_u64_u32 v[1:2], null, v2, 24, v[1:2]
	v_mov_b32_e32 v6, v1
	global_load_dwordx2 v[1:2], v[5:6], off glc dlc
	s_waitcnt vmcnt(0)
	global_atomic_cmpswap_x2 v[6:7], v0, v[1:4], s[26:27] offset:24 glc
	s_waitcnt vmcnt(0)
	buffer_gl1_inv
	buffer_gl0_inv
	v_cmp_eq_u64_e32 vcc_lo, v[6:7], v[3:4]
	s_or_b32 s9, vcc_lo, s9
	s_andn2_b32 exec_lo, exec_lo, s9
	s_cbranch_execnz .LBB4_415
; %bb.416:
	s_or_b32 exec_lo, exec_lo, s9
.LBB4_417:
	s_or_b32 exec_lo, exec_lo, s8
.LBB4_418:
	s_or_b32 exec_lo, exec_lo, s5
	v_mov_b32_e32 v5, 0
	v_readfirstlane_b32 s8, v6
	v_readfirstlane_b32 s9, v7
	s_mov_b32 s5, exec_lo
	s_clause 0x1
	global_load_dwordx2 v[8:9], v5, s[26:27] offset:40
	global_load_dwordx4 v[0:3], v5, s[26:27]
	s_waitcnt vmcnt(1)
	v_readfirstlane_b32 s12, v8
	v_readfirstlane_b32 s13, v9
	s_and_b64 s[12:13], s[8:9], s[12:13]
	s_mul_i32 s14, s13, 24
	s_mul_hi_u32 s15, s12, 24
	s_mul_i32 s16, s12, 24
	s_add_i32 s15, s15, s14
	s_waitcnt vmcnt(0)
	v_add_co_u32 v8, vcc_lo, v0, s16
	v_add_co_ci_u32_e32 v9, vcc_lo, s15, v1, vcc_lo
	s_and_saveexec_b32 s14, s4
	s_cbranch_execz .LBB4_420
; %bb.419:
	v_mov_b32_e32 v4, s5
	v_mov_b32_e32 v6, 2
	;; [unrolled: 1-line block ×3, first 2 shown]
	global_store_dwordx4 v[8:9], v[4:7], off offset:8
.LBB4_420:
	s_or_b32 exec_lo, exec_lo, s14
	s_lshl_b64 s[12:13], s[12:13], 12
	v_mov_b32_e32 v4, 33
	v_add_co_u32 v2, vcc_lo, v2, s12
	v_add_co_ci_u32_e32 v3, vcc_lo, s13, v3, vcc_lo
	s_mov_b32 s12, 0
	v_add_co_u32 v10, vcc_lo, v2, v36
	s_mov_b32 s13, s12
	s_mov_b32 s14, s12
	;; [unrolled: 1-line block ×3, first 2 shown]
	v_mov_b32_e32 v6, v5
	v_mov_b32_e32 v7, v5
	v_readfirstlane_b32 s16, v2
	v_readfirstlane_b32 s17, v3
	v_mov_b32_e32 v12, s12
	v_add_co_ci_u32_e32 v11, vcc_lo, 0, v3, vcc_lo
	v_mov_b32_e32 v13, s13
	v_mov_b32_e32 v14, s14
	;; [unrolled: 1-line block ×3, first 2 shown]
	global_store_dwordx4 v36, v[4:7], s[16:17]
	global_store_dwordx4 v36, v[12:15], s[16:17] offset:16
	global_store_dwordx4 v36, v[12:15], s[16:17] offset:32
	global_store_dwordx4 v36, v[12:15], s[16:17] offset:48
	s_and_saveexec_b32 s5, s4
	s_cbranch_execz .LBB4_428
; %bb.421:
	v_mov_b32_e32 v6, 0
	v_mov_b32_e32 v12, s8
	;; [unrolled: 1-line block ×3, first 2 shown]
	s_clause 0x1
	global_load_dwordx2 v[14:15], v6, s[26:27] offset:32 glc dlc
	global_load_dwordx2 v[2:3], v6, s[26:27] offset:40
	s_waitcnt vmcnt(0)
	v_readfirstlane_b32 s12, v2
	v_readfirstlane_b32 s13, v3
	s_and_b64 s[12:13], s[12:13], s[8:9]
	s_mul_i32 s13, s13, 24
	s_mul_hi_u32 s14, s12, 24
	s_mul_i32 s12, s12, 24
	s_add_i32 s14, s14, s13
	v_add_co_u32 v4, vcc_lo, v0, s12
	v_add_co_ci_u32_e32 v5, vcc_lo, s14, v1, vcc_lo
	s_mov_b32 s12, exec_lo
	global_store_dwordx2 v[4:5], v[14:15], off
	s_waitcnt_vscnt null, 0x0
	global_atomic_cmpswap_x2 v[2:3], v6, v[12:15], s[26:27] offset:32 glc
	s_waitcnt vmcnt(0)
	v_cmpx_ne_u64_e64 v[2:3], v[14:15]
	s_cbranch_execz .LBB4_424
; %bb.422:
	s_mov_b32 s13, 0
.LBB4_423:                              ; =>This Inner Loop Header: Depth=1
	v_mov_b32_e32 v0, s8
	v_mov_b32_e32 v1, s9
	s_sleep 1
	global_store_dwordx2 v[4:5], v[2:3], off
	s_waitcnt_vscnt null, 0x0
	global_atomic_cmpswap_x2 v[0:1], v6, v[0:3], s[26:27] offset:32 glc
	s_waitcnt vmcnt(0)
	v_cmp_eq_u64_e32 vcc_lo, v[0:1], v[2:3]
	v_mov_b32_e32 v3, v1
	v_mov_b32_e32 v2, v0
	s_or_b32 s13, vcc_lo, s13
	s_andn2_b32 exec_lo, exec_lo, s13
	s_cbranch_execnz .LBB4_423
.LBB4_424:
	s_or_b32 exec_lo, exec_lo, s12
	v_mov_b32_e32 v3, 0
	s_mov_b32 s13, exec_lo
	s_mov_b32 s12, exec_lo
	v_mbcnt_lo_u32_b32 v2, s13, 0
	global_load_dwordx2 v[0:1], v3, s[26:27] offset:16
	v_cmpx_eq_u32_e32 0, v2
	s_cbranch_execz .LBB4_426
; %bb.425:
	s_bcnt1_i32_b32 s13, s13
	v_mov_b32_e32 v2, s13
	s_waitcnt vmcnt(0)
	global_atomic_add_x2 v[0:1], v[2:3], off offset:8
.LBB4_426:
	s_or_b32 exec_lo, exec_lo, s12
	s_waitcnt vmcnt(0)
	global_load_dwordx2 v[2:3], v[0:1], off offset:16
	s_waitcnt vmcnt(0)
	v_cmp_eq_u64_e32 vcc_lo, 0, v[2:3]
	s_cbranch_vccnz .LBB4_428
; %bb.427:
	global_load_dword v0, v[0:1], off offset:24
	v_mov_b32_e32 v1, 0
	s_waitcnt vmcnt(0)
	v_and_b32_e32 v4, 0x7fffff, v0
	s_waitcnt_vscnt null, 0x0
	global_store_dwordx2 v[2:3], v[0:1], off
	v_readfirstlane_b32 m0, v4
	s_sendmsg sendmsg(MSG_INTERRUPT)
.LBB4_428:
	s_or_b32 exec_lo, exec_lo, s5
	s_branch .LBB4_432
	.p2align	6
.LBB4_429:                              ;   in Loop: Header=BB4_432 Depth=1
	s_or_b32 exec_lo, exec_lo, s5
	v_readfirstlane_b32 s5, v0
	s_cmp_eq_u32 s5, 0
	s_cbranch_scc1 .LBB4_431
; %bb.430:                              ;   in Loop: Header=BB4_432 Depth=1
	s_sleep 1
	s_cbranch_execnz .LBB4_432
	s_branch .LBB4_434
	.p2align	6
.LBB4_431:
	s_branch .LBB4_434
.LBB4_432:                              ; =>This Inner Loop Header: Depth=1
	v_mov_b32_e32 v0, 1
	s_and_saveexec_b32 s5, s4
	s_cbranch_execz .LBB4_429
; %bb.433:                              ;   in Loop: Header=BB4_432 Depth=1
	global_load_dword v0, v[8:9], off offset:20 glc dlc
	s_waitcnt vmcnt(0)
	buffer_gl1_inv
	buffer_gl0_inv
	v_and_b32_e32 v0, 1, v0
	s_branch .LBB4_429
.LBB4_434:
	global_load_dwordx2 v[4:5], v[10:11], off
	s_and_saveexec_b32 s5, s4
	s_cbranch_execz .LBB4_438
; %bb.435:
	v_mov_b32_e32 v8, 0
	s_clause 0x2
	global_load_dwordx2 v[2:3], v8, s[26:27] offset:40
	global_load_dwordx2 v[9:10], v8, s[26:27] offset:24 glc dlc
	global_load_dwordx2 v[6:7], v8, s[26:27]
	s_waitcnt vmcnt(2)
	v_add_co_u32 v11, vcc_lo, v2, 1
	v_add_co_ci_u32_e32 v12, vcc_lo, 0, v3, vcc_lo
	v_add_co_u32 v0, vcc_lo, v11, s8
	v_add_co_ci_u32_e32 v1, vcc_lo, s9, v12, vcc_lo
	v_cmp_eq_u64_e32 vcc_lo, 0, v[0:1]
	v_cndmask_b32_e32 v1, v1, v12, vcc_lo
	v_cndmask_b32_e32 v0, v0, v11, vcc_lo
	v_and_b32_e32 v3, v1, v3
	v_and_b32_e32 v2, v0, v2
	v_mul_lo_u32 v3, v3, 24
	v_mul_hi_u32 v11, v2, 24
	v_mul_lo_u32 v2, v2, 24
	v_add_nc_u32_e32 v3, v11, v3
	s_waitcnt vmcnt(0)
	v_add_co_u32 v6, vcc_lo, v6, v2
	v_mov_b32_e32 v2, v9
	v_add_co_ci_u32_e32 v7, vcc_lo, v7, v3, vcc_lo
	v_mov_b32_e32 v3, v10
	global_store_dwordx2 v[6:7], v[9:10], off
	s_waitcnt_vscnt null, 0x0
	global_atomic_cmpswap_x2 v[2:3], v8, v[0:3], s[26:27] offset:24 glc
	s_waitcnt vmcnt(0)
	v_cmp_ne_u64_e32 vcc_lo, v[2:3], v[9:10]
	s_and_b32 exec_lo, exec_lo, vcc_lo
	s_cbranch_execz .LBB4_438
; %bb.436:
	s_mov_b32 s4, 0
.LBB4_437:                              ; =>This Inner Loop Header: Depth=1
	s_sleep 1
	global_store_dwordx2 v[6:7], v[2:3], off
	s_waitcnt_vscnt null, 0x0
	global_atomic_cmpswap_x2 v[9:10], v8, v[0:3], s[26:27] offset:24 glc
	s_waitcnt vmcnt(0)
	v_cmp_eq_u64_e32 vcc_lo, v[9:10], v[2:3]
	v_mov_b32_e32 v2, v9
	v_mov_b32_e32 v3, v10
	s_or_b32 s4, vcc_lo, s4
	s_andn2_b32 exec_lo, exec_lo, s4
	s_cbranch_execnz .LBB4_437
.LBB4_438:
	s_or_b32 exec_lo, exec_lo, s5
	s_and_b32 vcc_lo, exec_lo, s21
	s_cbranch_vccz .LBB4_517
; %bb.439:
	s_waitcnt vmcnt(0)
	v_and_b32_e32 v28, 2, v4
	v_mov_b32_e32 v7, 0
	v_and_b32_e32 v0, -3, v4
	v_mov_b32_e32 v1, v5
	v_mov_b32_e32 v8, 2
	;; [unrolled: 1-line block ×3, first 2 shown]
	s_mov_b64 s[12:13], 3
	s_getpc_b64 s[8:9]
	s_add_u32 s8, s8, .str.5@rel32@lo+4
	s_addc_u32 s9, s9, .str.5@rel32@hi+12
	s_branch .LBB4_441
.LBB4_440:                              ;   in Loop: Header=BB4_441 Depth=1
	s_or_b32 exec_lo, exec_lo, s5
	s_sub_u32 s12, s12, s14
	s_subb_u32 s13, s13, s15
	s_add_u32 s8, s8, s14
	s_addc_u32 s9, s9, s15
	s_cmp_lg_u64 s[12:13], 0
	s_cbranch_scc0 .LBB4_516
.LBB4_441:                              ; =>This Loop Header: Depth=1
                                        ;     Child Loop BB4_450 Depth 2
                                        ;     Child Loop BB4_446 Depth 2
                                        ;     Child Loop BB4_458 Depth 2
                                        ;     Child Loop BB4_465 Depth 2
                                        ;     Child Loop BB4_472 Depth 2
                                        ;     Child Loop BB4_479 Depth 2
                                        ;     Child Loop BB4_486 Depth 2
                                        ;     Child Loop BB4_493 Depth 2
                                        ;     Child Loop BB4_501 Depth 2
                                        ;     Child Loop BB4_510 Depth 2
                                        ;     Child Loop BB4_515 Depth 2
	v_cmp_lt_u64_e64 s4, s[12:13], 56
	v_cmp_gt_u64_e64 s5, s[12:13], 7
                                        ; implicit-def: $vgpr2_vgpr3
                                        ; implicit-def: $sgpr22
	s_and_b32 s4, s4, exec_lo
	s_cselect_b32 s15, s13, 0
	s_cselect_b32 s14, s12, 56
	s_and_b32 vcc_lo, exec_lo, s5
	s_mov_b32 s4, -1
	s_cbranch_vccz .LBB4_448
; %bb.442:                              ;   in Loop: Header=BB4_441 Depth=1
	s_andn2_b32 vcc_lo, exec_lo, s4
	s_mov_b64 s[4:5], s[8:9]
	s_cbranch_vccz .LBB4_452
.LBB4_443:                              ;   in Loop: Header=BB4_441 Depth=1
	s_cmp_gt_u32 s22, 7
	s_cbranch_scc1 .LBB4_453
.LBB4_444:                              ;   in Loop: Header=BB4_441 Depth=1
	v_mov_b32_e32 v10, 0
	v_mov_b32_e32 v11, 0
	s_cmp_eq_u32 s22, 0
	s_cbranch_scc1 .LBB4_447
; %bb.445:                              ;   in Loop: Header=BB4_441 Depth=1
	s_mov_b64 s[16:17], 0
	s_mov_b64 s[18:19], 0
.LBB4_446:                              ;   Parent Loop BB4_441 Depth=1
                                        ; =>  This Inner Loop Header: Depth=2
	s_add_u32 s24, s4, s18
	s_addc_u32 s25, s5, s19
	s_add_u32 s18, s18, 1
	global_load_ubyte v6, v7, s[24:25]
	s_addc_u32 s19, s19, 0
	s_waitcnt vmcnt(0)
	v_and_b32_e32 v6, 0xffff, v6
	v_lshlrev_b64 v[12:13], s16, v[6:7]
	s_add_u32 s16, s16, 8
	s_addc_u32 s17, s17, 0
	s_cmp_lg_u32 s22, s18
	v_or_b32_e32 v10, v12, v10
	v_or_b32_e32 v11, v13, v11
	s_cbranch_scc1 .LBB4_446
.LBB4_447:                              ;   in Loop: Header=BB4_441 Depth=1
	s_mov_b32 s23, 0
	s_cbranch_execz .LBB4_454
	s_branch .LBB4_455
.LBB4_448:                              ;   in Loop: Header=BB4_441 Depth=1
	s_waitcnt vmcnt(0)
	v_mov_b32_e32 v2, 0
	v_mov_b32_e32 v3, 0
	s_cmp_eq_u64 s[12:13], 0
	s_mov_b64 s[4:5], 0
	s_cbranch_scc1 .LBB4_451
; %bb.449:                              ;   in Loop: Header=BB4_441 Depth=1
	v_mov_b32_e32 v2, 0
	v_mov_b32_e32 v3, 0
	s_lshl_b64 s[16:17], s[14:15], 3
	s_mov_b64 s[18:19], s[8:9]
.LBB4_450:                              ;   Parent Loop BB4_441 Depth=1
                                        ; =>  This Inner Loop Header: Depth=2
	global_load_ubyte v6, v7, s[18:19]
	s_waitcnt vmcnt(0)
	v_and_b32_e32 v6, 0xffff, v6
	v_lshlrev_b64 v[10:11], s4, v[6:7]
	s_add_u32 s4, s4, 8
	s_addc_u32 s5, s5, 0
	s_add_u32 s18, s18, 1
	s_addc_u32 s19, s19, 0
	s_cmp_lg_u32 s16, s4
	v_or_b32_e32 v2, v10, v2
	v_or_b32_e32 v3, v11, v3
	s_cbranch_scc1 .LBB4_450
.LBB4_451:                              ;   in Loop: Header=BB4_441 Depth=1
	s_mov_b32 s22, 0
	s_mov_b64 s[4:5], s[8:9]
	s_cbranch_execnz .LBB4_443
.LBB4_452:                              ;   in Loop: Header=BB4_441 Depth=1
	global_load_dwordx2 v[2:3], v7, s[8:9]
	s_add_i32 s22, s14, -8
	s_add_u32 s4, s8, 8
	s_addc_u32 s5, s9, 0
	s_cmp_gt_u32 s22, 7
	s_cbranch_scc0 .LBB4_444
.LBB4_453:                              ;   in Loop: Header=BB4_441 Depth=1
                                        ; implicit-def: $vgpr10_vgpr11
                                        ; implicit-def: $sgpr23
.LBB4_454:                              ;   in Loop: Header=BB4_441 Depth=1
	global_load_dwordx2 v[10:11], v7, s[4:5]
	s_add_i32 s23, s22, -8
	s_add_u32 s4, s4, 8
	s_addc_u32 s5, s5, 0
.LBB4_455:                              ;   in Loop: Header=BB4_441 Depth=1
	s_cmp_gt_u32 s23, 7
	s_cbranch_scc1 .LBB4_460
; %bb.456:                              ;   in Loop: Header=BB4_441 Depth=1
	v_mov_b32_e32 v12, 0
	v_mov_b32_e32 v13, 0
	s_cmp_eq_u32 s23, 0
	s_cbranch_scc1 .LBB4_459
; %bb.457:                              ;   in Loop: Header=BB4_441 Depth=1
	s_mov_b64 s[16:17], 0
	s_mov_b64 s[18:19], 0
.LBB4_458:                              ;   Parent Loop BB4_441 Depth=1
                                        ; =>  This Inner Loop Header: Depth=2
	s_add_u32 s24, s4, s18
	s_addc_u32 s25, s5, s19
	s_add_u32 s18, s18, 1
	global_load_ubyte v6, v7, s[24:25]
	s_addc_u32 s19, s19, 0
	s_waitcnt vmcnt(0)
	v_and_b32_e32 v6, 0xffff, v6
	v_lshlrev_b64 v[14:15], s16, v[6:7]
	s_add_u32 s16, s16, 8
	s_addc_u32 s17, s17, 0
	s_cmp_lg_u32 s23, s18
	v_or_b32_e32 v12, v14, v12
	v_or_b32_e32 v13, v15, v13
	s_cbranch_scc1 .LBB4_458
.LBB4_459:                              ;   in Loop: Header=BB4_441 Depth=1
	s_mov_b32 s22, 0
	s_cbranch_execz .LBB4_461
	s_branch .LBB4_462
.LBB4_460:                              ;   in Loop: Header=BB4_441 Depth=1
                                        ; implicit-def: $sgpr22
.LBB4_461:                              ;   in Loop: Header=BB4_441 Depth=1
	global_load_dwordx2 v[12:13], v7, s[4:5]
	s_add_i32 s22, s23, -8
	s_add_u32 s4, s4, 8
	s_addc_u32 s5, s5, 0
.LBB4_462:                              ;   in Loop: Header=BB4_441 Depth=1
	s_cmp_gt_u32 s22, 7
	s_cbranch_scc1 .LBB4_467
; %bb.463:                              ;   in Loop: Header=BB4_441 Depth=1
	v_mov_b32_e32 v14, 0
	v_mov_b32_e32 v15, 0
	s_cmp_eq_u32 s22, 0
	s_cbranch_scc1 .LBB4_466
; %bb.464:                              ;   in Loop: Header=BB4_441 Depth=1
	s_mov_b64 s[16:17], 0
	s_mov_b64 s[18:19], 0
.LBB4_465:                              ;   Parent Loop BB4_441 Depth=1
                                        ; =>  This Inner Loop Header: Depth=2
	s_add_u32 s24, s4, s18
	s_addc_u32 s25, s5, s19
	s_add_u32 s18, s18, 1
	global_load_ubyte v6, v7, s[24:25]
	s_addc_u32 s19, s19, 0
	s_waitcnt vmcnt(0)
	v_and_b32_e32 v6, 0xffff, v6
	v_lshlrev_b64 v[16:17], s16, v[6:7]
	s_add_u32 s16, s16, 8
	s_addc_u32 s17, s17, 0
	s_cmp_lg_u32 s22, s18
	v_or_b32_e32 v14, v16, v14
	v_or_b32_e32 v15, v17, v15
	s_cbranch_scc1 .LBB4_465
.LBB4_466:                              ;   in Loop: Header=BB4_441 Depth=1
	s_mov_b32 s23, 0
	s_cbranch_execz .LBB4_468
	s_branch .LBB4_469
.LBB4_467:                              ;   in Loop: Header=BB4_441 Depth=1
                                        ; implicit-def: $vgpr14_vgpr15
                                        ; implicit-def: $sgpr23
.LBB4_468:                              ;   in Loop: Header=BB4_441 Depth=1
	global_load_dwordx2 v[14:15], v7, s[4:5]
	s_add_i32 s23, s22, -8
	s_add_u32 s4, s4, 8
	s_addc_u32 s5, s5, 0
.LBB4_469:                              ;   in Loop: Header=BB4_441 Depth=1
	s_cmp_gt_u32 s23, 7
	s_cbranch_scc1 .LBB4_474
; %bb.470:                              ;   in Loop: Header=BB4_441 Depth=1
	v_mov_b32_e32 v16, 0
	v_mov_b32_e32 v17, 0
	s_cmp_eq_u32 s23, 0
	s_cbranch_scc1 .LBB4_473
; %bb.471:                              ;   in Loop: Header=BB4_441 Depth=1
	s_mov_b64 s[16:17], 0
	s_mov_b64 s[18:19], 0
.LBB4_472:                              ;   Parent Loop BB4_441 Depth=1
                                        ; =>  This Inner Loop Header: Depth=2
	s_add_u32 s24, s4, s18
	s_addc_u32 s25, s5, s19
	s_add_u32 s18, s18, 1
	global_load_ubyte v6, v7, s[24:25]
	s_addc_u32 s19, s19, 0
	s_waitcnt vmcnt(0)
	v_and_b32_e32 v6, 0xffff, v6
	v_lshlrev_b64 v[18:19], s16, v[6:7]
	s_add_u32 s16, s16, 8
	s_addc_u32 s17, s17, 0
	s_cmp_lg_u32 s23, s18
	v_or_b32_e32 v16, v18, v16
	v_or_b32_e32 v17, v19, v17
	s_cbranch_scc1 .LBB4_472
.LBB4_473:                              ;   in Loop: Header=BB4_441 Depth=1
	s_mov_b32 s22, 0
	s_cbranch_execz .LBB4_475
	s_branch .LBB4_476
.LBB4_474:                              ;   in Loop: Header=BB4_441 Depth=1
                                        ; implicit-def: $sgpr22
.LBB4_475:                              ;   in Loop: Header=BB4_441 Depth=1
	global_load_dwordx2 v[16:17], v7, s[4:5]
	s_add_i32 s22, s23, -8
	s_add_u32 s4, s4, 8
	s_addc_u32 s5, s5, 0
.LBB4_476:                              ;   in Loop: Header=BB4_441 Depth=1
	s_cmp_gt_u32 s22, 7
	s_cbranch_scc1 .LBB4_481
; %bb.477:                              ;   in Loop: Header=BB4_441 Depth=1
	v_mov_b32_e32 v18, 0
	v_mov_b32_e32 v19, 0
	s_cmp_eq_u32 s22, 0
	s_cbranch_scc1 .LBB4_480
; %bb.478:                              ;   in Loop: Header=BB4_441 Depth=1
	s_mov_b64 s[16:17], 0
	s_mov_b64 s[18:19], 0
.LBB4_479:                              ;   Parent Loop BB4_441 Depth=1
                                        ; =>  This Inner Loop Header: Depth=2
	s_add_u32 s24, s4, s18
	s_addc_u32 s25, s5, s19
	s_add_u32 s18, s18, 1
	global_load_ubyte v6, v7, s[24:25]
	s_addc_u32 s19, s19, 0
	s_waitcnt vmcnt(0)
	v_and_b32_e32 v6, 0xffff, v6
	v_lshlrev_b64 v[20:21], s16, v[6:7]
	s_add_u32 s16, s16, 8
	s_addc_u32 s17, s17, 0
	s_cmp_lg_u32 s22, s18
	v_or_b32_e32 v18, v20, v18
	v_or_b32_e32 v19, v21, v19
	s_cbranch_scc1 .LBB4_479
.LBB4_480:                              ;   in Loop: Header=BB4_441 Depth=1
	s_mov_b32 s23, 0
	s_cbranch_execz .LBB4_482
	s_branch .LBB4_483
.LBB4_481:                              ;   in Loop: Header=BB4_441 Depth=1
                                        ; implicit-def: $vgpr18_vgpr19
                                        ; implicit-def: $sgpr23
.LBB4_482:                              ;   in Loop: Header=BB4_441 Depth=1
	global_load_dwordx2 v[18:19], v7, s[4:5]
	s_add_i32 s23, s22, -8
	s_add_u32 s4, s4, 8
	s_addc_u32 s5, s5, 0
.LBB4_483:                              ;   in Loop: Header=BB4_441 Depth=1
	s_cmp_gt_u32 s23, 7
	s_cbranch_scc1 .LBB4_488
; %bb.484:                              ;   in Loop: Header=BB4_441 Depth=1
	v_mov_b32_e32 v20, 0
	v_mov_b32_e32 v21, 0
	s_cmp_eq_u32 s23, 0
	s_cbranch_scc1 .LBB4_487
; %bb.485:                              ;   in Loop: Header=BB4_441 Depth=1
	s_mov_b64 s[16:17], 0
	s_mov_b64 s[18:19], s[4:5]
.LBB4_486:                              ;   Parent Loop BB4_441 Depth=1
                                        ; =>  This Inner Loop Header: Depth=2
	global_load_ubyte v6, v7, s[18:19]
	s_add_i32 s23, s23, -1
	s_waitcnt vmcnt(0)
	v_and_b32_e32 v6, 0xffff, v6
	v_lshlrev_b64 v[22:23], s16, v[6:7]
	s_add_u32 s16, s16, 8
	s_addc_u32 s17, s17, 0
	s_add_u32 s18, s18, 1
	s_addc_u32 s19, s19, 0
	s_cmp_lg_u32 s23, 0
	v_or_b32_e32 v20, v22, v20
	v_or_b32_e32 v21, v23, v21
	s_cbranch_scc1 .LBB4_486
.LBB4_487:                              ;   in Loop: Header=BB4_441 Depth=1
	s_cbranch_execz .LBB4_489
	s_branch .LBB4_490
.LBB4_488:                              ;   in Loop: Header=BB4_441 Depth=1
.LBB4_489:                              ;   in Loop: Header=BB4_441 Depth=1
	global_load_dwordx2 v[20:21], v7, s[4:5]
.LBB4_490:                              ;   in Loop: Header=BB4_441 Depth=1
	v_readfirstlane_b32 s4, v37
	v_mov_b32_e32 v26, 0
	v_mov_b32_e32 v27, 0
	v_cmp_eq_u32_e64 s4, s4, v37
	s_and_saveexec_b32 s5, s4
	s_cbranch_execz .LBB4_496
; %bb.491:                              ;   in Loop: Header=BB4_441 Depth=1
	global_load_dwordx2 v[24:25], v7, s[26:27] offset:24 glc dlc
	s_waitcnt vmcnt(0)
	buffer_gl1_inv
	buffer_gl0_inv
	s_clause 0x1
	global_load_dwordx2 v[22:23], v7, s[26:27] offset:40
	global_load_dwordx2 v[26:27], v7, s[26:27]
	s_mov_b32 s16, exec_lo
	s_waitcnt vmcnt(1)
	v_and_b32_e32 v6, v23, v25
	v_and_b32_e32 v22, v22, v24
	v_mul_lo_u32 v6, v6, 24
	v_mul_hi_u32 v23, v22, 24
	v_mul_lo_u32 v22, v22, 24
	v_add_nc_u32_e32 v6, v23, v6
	s_waitcnt vmcnt(0)
	v_add_co_u32 v22, vcc_lo, v26, v22
	v_add_co_ci_u32_e32 v23, vcc_lo, v27, v6, vcc_lo
	global_load_dwordx2 v[22:23], v[22:23], off glc dlc
	s_waitcnt vmcnt(0)
	global_atomic_cmpswap_x2 v[26:27], v7, v[22:25], s[26:27] offset:24 glc
	s_waitcnt vmcnt(0)
	buffer_gl1_inv
	buffer_gl0_inv
	v_cmpx_ne_u64_e64 v[26:27], v[24:25]
	s_cbranch_execz .LBB4_495
; %bb.492:                              ;   in Loop: Header=BB4_441 Depth=1
	s_mov_b32 s17, 0
	.p2align	6
.LBB4_493:                              ;   Parent Loop BB4_441 Depth=1
                                        ; =>  This Inner Loop Header: Depth=2
	s_sleep 1
	s_clause 0x1
	global_load_dwordx2 v[22:23], v7, s[26:27] offset:40
	global_load_dwordx2 v[29:30], v7, s[26:27]
	v_mov_b32_e32 v24, v26
	v_mov_b32_e32 v25, v27
	s_waitcnt vmcnt(1)
	v_and_b32_e32 v6, v22, v24
	v_and_b32_e32 v22, v23, v25
	s_waitcnt vmcnt(0)
	v_mad_u64_u32 v[26:27], null, v6, 24, v[29:30]
	v_mov_b32_e32 v6, v27
	v_mad_u64_u32 v[22:23], null, v22, 24, v[6:7]
	v_mov_b32_e32 v27, v22
	global_load_dwordx2 v[22:23], v[26:27], off glc dlc
	s_waitcnt vmcnt(0)
	global_atomic_cmpswap_x2 v[26:27], v7, v[22:25], s[26:27] offset:24 glc
	s_waitcnt vmcnt(0)
	buffer_gl1_inv
	buffer_gl0_inv
	v_cmp_eq_u64_e32 vcc_lo, v[26:27], v[24:25]
	s_or_b32 s17, vcc_lo, s17
	s_andn2_b32 exec_lo, exec_lo, s17
	s_cbranch_execnz .LBB4_493
; %bb.494:                              ;   in Loop: Header=BB4_441 Depth=1
	s_or_b32 exec_lo, exec_lo, s17
.LBB4_495:                              ;   in Loop: Header=BB4_441 Depth=1
	s_or_b32 exec_lo, exec_lo, s16
.LBB4_496:                              ;   in Loop: Header=BB4_441 Depth=1
	s_or_b32 exec_lo, exec_lo, s5
	s_clause 0x1
	global_load_dwordx2 v[29:30], v7, s[26:27] offset:40
	global_load_dwordx4 v[22:25], v7, s[26:27]
	v_readfirstlane_b32 s16, v26
	v_readfirstlane_b32 s17, v27
	s_mov_b32 s5, exec_lo
	s_waitcnt vmcnt(1)
	v_readfirstlane_b32 s18, v29
	v_readfirstlane_b32 s19, v30
	s_and_b64 s[18:19], s[16:17], s[18:19]
	s_mul_i32 s22, s19, 24
	s_mul_hi_u32 s23, s18, 24
	s_mul_i32 s24, s18, 24
	s_add_i32 s23, s23, s22
	s_waitcnt vmcnt(0)
	v_add_co_u32 v26, vcc_lo, v22, s24
	v_add_co_ci_u32_e32 v27, vcc_lo, s23, v23, vcc_lo
	s_and_saveexec_b32 s22, s4
	s_cbranch_execz .LBB4_498
; %bb.497:                              ;   in Loop: Header=BB4_441 Depth=1
	v_mov_b32_e32 v6, s5
	global_store_dwordx4 v[26:27], v[6:9], off offset:8
.LBB4_498:                              ;   in Loop: Header=BB4_441 Depth=1
	s_or_b32 exec_lo, exec_lo, s22
	s_lshl_b64 s[18:19], s[18:19], 12
	v_cmp_gt_u64_e64 vcc_lo, s[12:13], 56
	v_or_b32_e32 v29, v0, v28
	v_add_co_u32 v24, s5, v24, s18
	v_add_co_ci_u32_e64 v25, s5, s19, v25, s5
	s_lshl_b32 s5, s14, 2
	v_or_b32_e32 v6, 0, v1
	v_cndmask_b32_e32 v0, v29, v0, vcc_lo
	s_add_i32 s5, s5, 28
	v_readfirstlane_b32 s18, v24
	s_and_b32 s5, s5, 0x1e0
	v_cndmask_b32_e32 v1, v6, v1, vcc_lo
	v_readfirstlane_b32 s19, v25
	v_and_or_b32 v0, 0xffffff1f, v0, s5
	global_store_dwordx4 v36, v[0:3], s[18:19]
	global_store_dwordx4 v36, v[10:13], s[18:19] offset:16
	global_store_dwordx4 v36, v[14:17], s[18:19] offset:32
	;; [unrolled: 1-line block ×3, first 2 shown]
	s_and_saveexec_b32 s5, s4
	s_cbranch_execz .LBB4_506
; %bb.499:                              ;   in Loop: Header=BB4_441 Depth=1
	s_clause 0x1
	global_load_dwordx2 v[14:15], v7, s[26:27] offset:32 glc dlc
	global_load_dwordx2 v[0:1], v7, s[26:27] offset:40
	v_mov_b32_e32 v12, s16
	v_mov_b32_e32 v13, s17
	s_waitcnt vmcnt(0)
	v_readfirstlane_b32 s18, v0
	v_readfirstlane_b32 s19, v1
	s_and_b64 s[18:19], s[18:19], s[16:17]
	s_mul_i32 s19, s19, 24
	s_mul_hi_u32 s22, s18, 24
	s_mul_i32 s18, s18, 24
	s_add_i32 s22, s22, s19
	v_add_co_u32 v10, vcc_lo, v22, s18
	v_add_co_ci_u32_e32 v11, vcc_lo, s22, v23, vcc_lo
	s_mov_b32 s18, exec_lo
	global_store_dwordx2 v[10:11], v[14:15], off
	s_waitcnt_vscnt null, 0x0
	global_atomic_cmpswap_x2 v[2:3], v7, v[12:15], s[26:27] offset:32 glc
	s_waitcnt vmcnt(0)
	v_cmpx_ne_u64_e64 v[2:3], v[14:15]
	s_cbranch_execz .LBB4_502
; %bb.500:                              ;   in Loop: Header=BB4_441 Depth=1
	s_mov_b32 s19, 0
.LBB4_501:                              ;   Parent Loop BB4_441 Depth=1
                                        ; =>  This Inner Loop Header: Depth=2
	v_mov_b32_e32 v0, s16
	v_mov_b32_e32 v1, s17
	s_sleep 1
	global_store_dwordx2 v[10:11], v[2:3], off
	s_waitcnt_vscnt null, 0x0
	global_atomic_cmpswap_x2 v[0:1], v7, v[0:3], s[26:27] offset:32 glc
	s_waitcnt vmcnt(0)
	v_cmp_eq_u64_e32 vcc_lo, v[0:1], v[2:3]
	v_mov_b32_e32 v3, v1
	v_mov_b32_e32 v2, v0
	s_or_b32 s19, vcc_lo, s19
	s_andn2_b32 exec_lo, exec_lo, s19
	s_cbranch_execnz .LBB4_501
.LBB4_502:                              ;   in Loop: Header=BB4_441 Depth=1
	s_or_b32 exec_lo, exec_lo, s18
	global_load_dwordx2 v[0:1], v7, s[26:27] offset:16
	s_mov_b32 s19, exec_lo
	s_mov_b32 s18, exec_lo
	v_mbcnt_lo_u32_b32 v2, s19, 0
	v_cmpx_eq_u32_e32 0, v2
	s_cbranch_execz .LBB4_504
; %bb.503:                              ;   in Loop: Header=BB4_441 Depth=1
	s_bcnt1_i32_b32 s19, s19
	v_mov_b32_e32 v6, s19
	s_waitcnt vmcnt(0)
	global_atomic_add_x2 v[0:1], v[6:7], off offset:8
.LBB4_504:                              ;   in Loop: Header=BB4_441 Depth=1
	s_or_b32 exec_lo, exec_lo, s18
	s_waitcnt vmcnt(0)
	global_load_dwordx2 v[2:3], v[0:1], off offset:16
	s_waitcnt vmcnt(0)
	v_cmp_eq_u64_e32 vcc_lo, 0, v[2:3]
	s_cbranch_vccnz .LBB4_506
; %bb.505:                              ;   in Loop: Header=BB4_441 Depth=1
	global_load_dword v6, v[0:1], off offset:24
	s_waitcnt vmcnt(0)
	v_and_b32_e32 v0, 0x7fffff, v6
	s_waitcnt_vscnt null, 0x0
	global_store_dwordx2 v[2:3], v[6:7], off
	v_readfirstlane_b32 m0, v0
	s_sendmsg sendmsg(MSG_INTERRUPT)
.LBB4_506:                              ;   in Loop: Header=BB4_441 Depth=1
	s_or_b32 exec_lo, exec_lo, s5
	v_add_co_u32 v0, vcc_lo, v24, v36
	v_add_co_ci_u32_e32 v1, vcc_lo, 0, v25, vcc_lo
	s_branch .LBB4_510
	.p2align	6
.LBB4_507:                              ;   in Loop: Header=BB4_510 Depth=2
	s_or_b32 exec_lo, exec_lo, s5
	v_readfirstlane_b32 s5, v2
	s_cmp_eq_u32 s5, 0
	s_cbranch_scc1 .LBB4_509
; %bb.508:                              ;   in Loop: Header=BB4_510 Depth=2
	s_sleep 1
	s_cbranch_execnz .LBB4_510
	s_branch .LBB4_512
	.p2align	6
.LBB4_509:                              ;   in Loop: Header=BB4_441 Depth=1
	s_branch .LBB4_512
.LBB4_510:                              ;   Parent Loop BB4_441 Depth=1
                                        ; =>  This Inner Loop Header: Depth=2
	v_mov_b32_e32 v2, 1
	s_and_saveexec_b32 s5, s4
	s_cbranch_execz .LBB4_507
; %bb.511:                              ;   in Loop: Header=BB4_510 Depth=2
	global_load_dword v2, v[26:27], off offset:20 glc dlc
	s_waitcnt vmcnt(0)
	buffer_gl1_inv
	buffer_gl0_inv
	v_and_b32_e32 v2, 1, v2
	s_branch .LBB4_507
.LBB4_512:                              ;   in Loop: Header=BB4_441 Depth=1
	global_load_dwordx4 v[0:3], v[0:1], off
	s_and_saveexec_b32 s5, s4
	s_cbranch_execz .LBB4_440
; %bb.513:                              ;   in Loop: Header=BB4_441 Depth=1
	s_clause 0x2
	global_load_dwordx2 v[2:3], v7, s[26:27] offset:40
	global_load_dwordx2 v[14:15], v7, s[26:27] offset:24 glc dlc
	global_load_dwordx2 v[12:13], v7, s[26:27]
	s_waitcnt vmcnt(2)
	v_add_co_u32 v6, vcc_lo, v2, 1
	v_add_co_ci_u32_e32 v16, vcc_lo, 0, v3, vcc_lo
	v_add_co_u32 v10, vcc_lo, v6, s16
	v_add_co_ci_u32_e32 v11, vcc_lo, s17, v16, vcc_lo
	v_cmp_eq_u64_e32 vcc_lo, 0, v[10:11]
	v_cndmask_b32_e32 v11, v11, v16, vcc_lo
	v_cndmask_b32_e32 v10, v10, v6, vcc_lo
	v_and_b32_e32 v3, v11, v3
	v_and_b32_e32 v2, v10, v2
	v_mul_lo_u32 v3, v3, 24
	v_mul_hi_u32 v6, v2, 24
	v_mul_lo_u32 v2, v2, 24
	v_add_nc_u32_e32 v3, v6, v3
	s_waitcnt vmcnt(0)
	v_add_co_u32 v2, vcc_lo, v12, v2
	v_mov_b32_e32 v12, v14
	v_add_co_ci_u32_e32 v3, vcc_lo, v13, v3, vcc_lo
	v_mov_b32_e32 v13, v15
	global_store_dwordx2 v[2:3], v[14:15], off
	s_waitcnt_vscnt null, 0x0
	global_atomic_cmpswap_x2 v[12:13], v7, v[10:13], s[26:27] offset:24 glc
	s_waitcnt vmcnt(0)
	v_cmp_ne_u64_e32 vcc_lo, v[12:13], v[14:15]
	s_and_b32 exec_lo, exec_lo, vcc_lo
	s_cbranch_execz .LBB4_440
; %bb.514:                              ;   in Loop: Header=BB4_441 Depth=1
	s_mov_b32 s4, 0
.LBB4_515:                              ;   Parent Loop BB4_441 Depth=1
                                        ; =>  This Inner Loop Header: Depth=2
	s_sleep 1
	global_store_dwordx2 v[2:3], v[12:13], off
	s_waitcnt_vscnt null, 0x0
	global_atomic_cmpswap_x2 v[14:15], v7, v[10:13], s[26:27] offset:24 glc
	s_waitcnt vmcnt(0)
	v_cmp_eq_u64_e32 vcc_lo, v[14:15], v[12:13]
	v_mov_b32_e32 v12, v14
	v_mov_b32_e32 v13, v15
	s_or_b32 s4, vcc_lo, s4
	s_andn2_b32 exec_lo, exec_lo, s4
	s_cbranch_execnz .LBB4_515
	s_branch .LBB4_440
.LBB4_516:
	s_branch .LBB4_545
.LBB4_517:
                                        ; implicit-def: $vgpr0_vgpr1
	s_cbranch_execz .LBB4_545
; %bb.518:
	v_readfirstlane_b32 s4, v37
	v_mov_b32_e32 v7, 0
	v_mov_b32_e32 v8, 0
	v_cmp_eq_u32_e64 s4, s4, v37
	s_and_saveexec_b32 s5, s4
	s_cbranch_execz .LBB4_524
; %bb.519:
	s_waitcnt vmcnt(0)
	v_mov_b32_e32 v0, 0
	s_mov_b32 s8, exec_lo
	global_load_dwordx2 v[9:10], v0, s[26:27] offset:24 glc dlc
	s_waitcnt vmcnt(0)
	buffer_gl1_inv
	buffer_gl0_inv
	s_clause 0x1
	global_load_dwordx2 v[1:2], v0, s[26:27] offset:40
	global_load_dwordx2 v[6:7], v0, s[26:27]
	s_waitcnt vmcnt(1)
	v_and_b32_e32 v2, v2, v10
	v_and_b32_e32 v1, v1, v9
	v_mul_lo_u32 v2, v2, 24
	v_mul_hi_u32 v3, v1, 24
	v_mul_lo_u32 v1, v1, 24
	v_add_nc_u32_e32 v2, v3, v2
	s_waitcnt vmcnt(0)
	v_add_co_u32 v1, vcc_lo, v6, v1
	v_add_co_ci_u32_e32 v2, vcc_lo, v7, v2, vcc_lo
	global_load_dwordx2 v[7:8], v[1:2], off glc dlc
	s_waitcnt vmcnt(0)
	global_atomic_cmpswap_x2 v[7:8], v0, v[7:10], s[26:27] offset:24 glc
	s_waitcnt vmcnt(0)
	buffer_gl1_inv
	buffer_gl0_inv
	v_cmpx_ne_u64_e64 v[7:8], v[9:10]
	s_cbranch_execz .LBB4_523
; %bb.520:
	s_mov_b32 s9, 0
.LBB4_521:                              ; =>This Inner Loop Header: Depth=1
	s_sleep 1
	s_clause 0x1
	global_load_dwordx2 v[1:2], v0, s[26:27] offset:40
	global_load_dwordx2 v[11:12], v0, s[26:27]
	v_mov_b32_e32 v10, v8
	v_mov_b32_e32 v9, v7
	s_waitcnt vmcnt(1)
	v_and_b32_e32 v1, v1, v9
	v_and_b32_e32 v2, v2, v10
	s_waitcnt vmcnt(0)
	v_mad_u64_u32 v[6:7], null, v1, 24, v[11:12]
	v_mov_b32_e32 v1, v7
	v_mad_u64_u32 v[1:2], null, v2, 24, v[1:2]
	v_mov_b32_e32 v7, v1
	global_load_dwordx2 v[7:8], v[6:7], off glc dlc
	s_waitcnt vmcnt(0)
	global_atomic_cmpswap_x2 v[7:8], v0, v[7:10], s[26:27] offset:24 glc
	s_waitcnt vmcnt(0)
	buffer_gl1_inv
	buffer_gl0_inv
	v_cmp_eq_u64_e32 vcc_lo, v[7:8], v[9:10]
	s_or_b32 s9, vcc_lo, s9
	s_andn2_b32 exec_lo, exec_lo, s9
	s_cbranch_execnz .LBB4_521
; %bb.522:
	s_or_b32 exec_lo, exec_lo, s9
.LBB4_523:
	s_or_b32 exec_lo, exec_lo, s8
.LBB4_524:
	s_or_b32 exec_lo, exec_lo, s5
	v_mov_b32_e32 v6, 0
	v_readfirstlane_b32 s8, v7
	v_readfirstlane_b32 s9, v8
	s_mov_b32 s5, exec_lo
	s_clause 0x1
	global_load_dwordx2 v[9:10], v6, s[26:27] offset:40
	global_load_dwordx4 v[0:3], v6, s[26:27]
	s_waitcnt vmcnt(1)
	v_readfirstlane_b32 s12, v9
	v_readfirstlane_b32 s13, v10
	s_and_b64 s[12:13], s[8:9], s[12:13]
	s_mul_i32 s14, s13, 24
	s_mul_hi_u32 s15, s12, 24
	s_mul_i32 s16, s12, 24
	s_add_i32 s15, s15, s14
	s_waitcnt vmcnt(0)
	v_add_co_u32 v8, vcc_lo, v0, s16
	v_add_co_ci_u32_e32 v9, vcc_lo, s15, v1, vcc_lo
	s_and_saveexec_b32 s14, s4
	s_cbranch_execz .LBB4_526
; %bb.525:
	v_mov_b32_e32 v10, s5
	v_mov_b32_e32 v11, v6
	;; [unrolled: 1-line block ×4, first 2 shown]
	global_store_dwordx4 v[8:9], v[10:13], off offset:8
.LBB4_526:
	s_or_b32 exec_lo, exec_lo, s14
	s_lshl_b64 s[12:13], s[12:13], 12
	v_and_or_b32 v4, 0xffffff1f, v4, 32
	v_add_co_u32 v2, vcc_lo, v2, s12
	v_add_co_ci_u32_e32 v3, vcc_lo, s13, v3, vcc_lo
	s_mov_b32 s12, 0
	v_add_co_u32 v10, vcc_lo, v2, v36
	s_mov_b32 s13, s12
	s_mov_b32 s14, s12
	;; [unrolled: 1-line block ×3, first 2 shown]
	v_mov_b32_e32 v7, v6
	v_readfirstlane_b32 s16, v2
	v_readfirstlane_b32 s17, v3
	v_mov_b32_e32 v12, s12
	v_add_co_ci_u32_e32 v11, vcc_lo, 0, v3, vcc_lo
	v_mov_b32_e32 v13, s13
	v_mov_b32_e32 v14, s14
	;; [unrolled: 1-line block ×3, first 2 shown]
	global_store_dwordx4 v36, v[4:7], s[16:17]
	global_store_dwordx4 v36, v[12:15], s[16:17] offset:16
	global_store_dwordx4 v36, v[12:15], s[16:17] offset:32
	;; [unrolled: 1-line block ×3, first 2 shown]
	s_and_saveexec_b32 s5, s4
	s_cbranch_execz .LBB4_534
; %bb.527:
	v_mov_b32_e32 v6, 0
	v_mov_b32_e32 v12, s8
	;; [unrolled: 1-line block ×3, first 2 shown]
	s_clause 0x1
	global_load_dwordx2 v[14:15], v6, s[26:27] offset:32 glc dlc
	global_load_dwordx2 v[2:3], v6, s[26:27] offset:40
	s_waitcnt vmcnt(0)
	v_readfirstlane_b32 s12, v2
	v_readfirstlane_b32 s13, v3
	s_and_b64 s[12:13], s[12:13], s[8:9]
	s_mul_i32 s13, s13, 24
	s_mul_hi_u32 s14, s12, 24
	s_mul_i32 s12, s12, 24
	s_add_i32 s14, s14, s13
	v_add_co_u32 v4, vcc_lo, v0, s12
	v_add_co_ci_u32_e32 v5, vcc_lo, s14, v1, vcc_lo
	s_mov_b32 s12, exec_lo
	global_store_dwordx2 v[4:5], v[14:15], off
	s_waitcnt_vscnt null, 0x0
	global_atomic_cmpswap_x2 v[2:3], v6, v[12:15], s[26:27] offset:32 glc
	s_waitcnt vmcnt(0)
	v_cmpx_ne_u64_e64 v[2:3], v[14:15]
	s_cbranch_execz .LBB4_530
; %bb.528:
	s_mov_b32 s13, 0
.LBB4_529:                              ; =>This Inner Loop Header: Depth=1
	v_mov_b32_e32 v0, s8
	v_mov_b32_e32 v1, s9
	s_sleep 1
	global_store_dwordx2 v[4:5], v[2:3], off
	s_waitcnt_vscnt null, 0x0
	global_atomic_cmpswap_x2 v[0:1], v6, v[0:3], s[26:27] offset:32 glc
	s_waitcnt vmcnt(0)
	v_cmp_eq_u64_e32 vcc_lo, v[0:1], v[2:3]
	v_mov_b32_e32 v3, v1
	v_mov_b32_e32 v2, v0
	s_or_b32 s13, vcc_lo, s13
	s_andn2_b32 exec_lo, exec_lo, s13
	s_cbranch_execnz .LBB4_529
.LBB4_530:
	s_or_b32 exec_lo, exec_lo, s12
	v_mov_b32_e32 v3, 0
	s_mov_b32 s13, exec_lo
	s_mov_b32 s12, exec_lo
	v_mbcnt_lo_u32_b32 v2, s13, 0
	global_load_dwordx2 v[0:1], v3, s[26:27] offset:16
	v_cmpx_eq_u32_e32 0, v2
	s_cbranch_execz .LBB4_532
; %bb.531:
	s_bcnt1_i32_b32 s13, s13
	v_mov_b32_e32 v2, s13
	s_waitcnt vmcnt(0)
	global_atomic_add_x2 v[0:1], v[2:3], off offset:8
.LBB4_532:
	s_or_b32 exec_lo, exec_lo, s12
	s_waitcnt vmcnt(0)
	global_load_dwordx2 v[2:3], v[0:1], off offset:16
	s_waitcnt vmcnt(0)
	v_cmp_eq_u64_e32 vcc_lo, 0, v[2:3]
	s_cbranch_vccnz .LBB4_534
; %bb.533:
	global_load_dword v0, v[0:1], off offset:24
	v_mov_b32_e32 v1, 0
	s_waitcnt vmcnt(0)
	v_and_b32_e32 v4, 0x7fffff, v0
	s_waitcnt_vscnt null, 0x0
	global_store_dwordx2 v[2:3], v[0:1], off
	v_readfirstlane_b32 m0, v4
	s_sendmsg sendmsg(MSG_INTERRUPT)
.LBB4_534:
	s_or_b32 exec_lo, exec_lo, s5
	s_branch .LBB4_538
	.p2align	6
.LBB4_535:                              ;   in Loop: Header=BB4_538 Depth=1
	s_or_b32 exec_lo, exec_lo, s5
	v_readfirstlane_b32 s5, v0
	s_cmp_eq_u32 s5, 0
	s_cbranch_scc1 .LBB4_537
; %bb.536:                              ;   in Loop: Header=BB4_538 Depth=1
	s_sleep 1
	s_cbranch_execnz .LBB4_538
	s_branch .LBB4_540
	.p2align	6
.LBB4_537:
	s_branch .LBB4_540
.LBB4_538:                              ; =>This Inner Loop Header: Depth=1
	v_mov_b32_e32 v0, 1
	s_and_saveexec_b32 s5, s4
	s_cbranch_execz .LBB4_535
; %bb.539:                              ;   in Loop: Header=BB4_538 Depth=1
	global_load_dword v0, v[8:9], off offset:20 glc dlc
	s_waitcnt vmcnt(0)
	buffer_gl1_inv
	buffer_gl0_inv
	v_and_b32_e32 v0, 1, v0
	s_branch .LBB4_535
.LBB4_540:
	global_load_dwordx2 v[0:1], v[10:11], off
	s_and_saveexec_b32 s5, s4
	s_cbranch_execz .LBB4_544
; %bb.541:
	v_mov_b32_e32 v8, 0
	s_clause 0x2
	global_load_dwordx2 v[4:5], v8, s[26:27] offset:40
	global_load_dwordx2 v[9:10], v8, s[26:27] offset:24 glc dlc
	global_load_dwordx2 v[6:7], v8, s[26:27]
	s_waitcnt vmcnt(2)
	v_add_co_u32 v11, vcc_lo, v4, 1
	v_add_co_ci_u32_e32 v12, vcc_lo, 0, v5, vcc_lo
	v_add_co_u32 v2, vcc_lo, v11, s8
	v_add_co_ci_u32_e32 v3, vcc_lo, s9, v12, vcc_lo
	v_cmp_eq_u64_e32 vcc_lo, 0, v[2:3]
	v_cndmask_b32_e32 v3, v3, v12, vcc_lo
	v_cndmask_b32_e32 v2, v2, v11, vcc_lo
	v_and_b32_e32 v5, v3, v5
	v_and_b32_e32 v4, v2, v4
	v_mul_lo_u32 v5, v5, 24
	v_mul_hi_u32 v11, v4, 24
	v_mul_lo_u32 v4, v4, 24
	v_add_nc_u32_e32 v5, v11, v5
	s_waitcnt vmcnt(0)
	v_add_co_u32 v6, vcc_lo, v6, v4
	v_mov_b32_e32 v4, v9
	v_add_co_ci_u32_e32 v7, vcc_lo, v7, v5, vcc_lo
	v_mov_b32_e32 v5, v10
	global_store_dwordx2 v[6:7], v[9:10], off
	s_waitcnt_vscnt null, 0x0
	global_atomic_cmpswap_x2 v[4:5], v8, v[2:5], s[26:27] offset:24 glc
	s_waitcnt vmcnt(0)
	v_cmp_ne_u64_e32 vcc_lo, v[4:5], v[9:10]
	s_and_b32 exec_lo, exec_lo, vcc_lo
	s_cbranch_execz .LBB4_544
; %bb.542:
	s_mov_b32 s4, 0
.LBB4_543:                              ; =>This Inner Loop Header: Depth=1
	s_sleep 1
	global_store_dwordx2 v[6:7], v[4:5], off
	s_waitcnt_vscnt null, 0x0
	global_atomic_cmpswap_x2 v[9:10], v8, v[2:5], s[26:27] offset:24 glc
	s_waitcnt vmcnt(0)
	v_cmp_eq_u64_e32 vcc_lo, v[9:10], v[4:5]
	v_mov_b32_e32 v4, v9
	v_mov_b32_e32 v5, v10
	s_or_b32 s4, vcc_lo, s4
	s_andn2_b32 exec_lo, exec_lo, s4
	s_cbranch_execnz .LBB4_543
.LBB4_544:
	s_or_b32 exec_lo, exec_lo, s5
.LBB4_545:
	s_getpc_b64 s[8:9]
	s_add_u32 s8, s8, .str.1@rel32@lo+4
	s_addc_u32 s9, s9, .str.1@rel32@hi+12
	s_cmp_lg_u64 s[8:9], 0
	s_cbranch_scc0 .LBB4_624
; %bb.546:
	s_waitcnt vmcnt(0)
	v_and_b32_e32 v6, -3, v0
	v_mov_b32_e32 v7, v1
	v_mov_b32_e32 v3, 0
	;; [unrolled: 1-line block ×4, first 2 shown]
	s_mov_b64 s[12:13], 0x53
	s_branch .LBB4_548
.LBB4_547:                              ;   in Loop: Header=BB4_548 Depth=1
	s_or_b32 exec_lo, exec_lo, s5
	s_sub_u32 s12, s12, s14
	s_subb_u32 s13, s13, s15
	s_add_u32 s8, s8, s14
	s_addc_u32 s9, s9, s15
	s_cmp_lg_u64 s[12:13], 0
	s_cbranch_scc0 .LBB4_623
.LBB4_548:                              ; =>This Loop Header: Depth=1
                                        ;     Child Loop BB4_557 Depth 2
                                        ;     Child Loop BB4_553 Depth 2
                                        ;     Child Loop BB4_565 Depth 2
                                        ;     Child Loop BB4_572 Depth 2
                                        ;     Child Loop BB4_579 Depth 2
                                        ;     Child Loop BB4_586 Depth 2
                                        ;     Child Loop BB4_593 Depth 2
                                        ;     Child Loop BB4_600 Depth 2
                                        ;     Child Loop BB4_608 Depth 2
                                        ;     Child Loop BB4_617 Depth 2
                                        ;     Child Loop BB4_622 Depth 2
	v_cmp_lt_u64_e64 s4, s[12:13], 56
	v_cmp_gt_u64_e64 s5, s[12:13], 7
                                        ; implicit-def: $sgpr22
	s_and_b32 s4, s4, exec_lo
	s_cselect_b32 s15, s13, 0
	s_cselect_b32 s14, s12, 56
	s_and_b32 vcc_lo, exec_lo, s5
	s_mov_b32 s4, -1
	s_cbranch_vccz .LBB4_555
; %bb.549:                              ;   in Loop: Header=BB4_548 Depth=1
	s_andn2_b32 vcc_lo, exec_lo, s4
	s_mov_b64 s[4:5], s[8:9]
	s_cbranch_vccz .LBB4_559
.LBB4_550:                              ;   in Loop: Header=BB4_548 Depth=1
	s_cmp_gt_u32 s22, 7
	s_cbranch_scc1 .LBB4_560
.LBB4_551:                              ;   in Loop: Header=BB4_548 Depth=1
	v_mov_b32_e32 v10, 0
	v_mov_b32_e32 v11, 0
	s_cmp_eq_u32 s22, 0
	s_cbranch_scc1 .LBB4_554
; %bb.552:                              ;   in Loop: Header=BB4_548 Depth=1
	s_mov_b64 s[16:17], 0
	s_mov_b64 s[18:19], 0
.LBB4_553:                              ;   Parent Loop BB4_548 Depth=1
                                        ; =>  This Inner Loop Header: Depth=2
	s_add_u32 s24, s4, s18
	s_addc_u32 s25, s5, s19
	s_add_u32 s18, s18, 1
	global_load_ubyte v2, v3, s[24:25]
	s_addc_u32 s19, s19, 0
	s_waitcnt vmcnt(0)
	v_and_b32_e32 v2, 0xffff, v2
	v_lshlrev_b64 v[12:13], s16, v[2:3]
	s_add_u32 s16, s16, 8
	s_addc_u32 s17, s17, 0
	s_cmp_lg_u32 s22, s18
	v_or_b32_e32 v10, v12, v10
	v_or_b32_e32 v11, v13, v11
	s_cbranch_scc1 .LBB4_553
.LBB4_554:                              ;   in Loop: Header=BB4_548 Depth=1
	s_mov_b32 s23, 0
	s_cbranch_execz .LBB4_561
	s_branch .LBB4_562
.LBB4_555:                              ;   in Loop: Header=BB4_548 Depth=1
	s_waitcnt vmcnt(0)
	v_mov_b32_e32 v8, 0
	v_mov_b32_e32 v9, 0
	s_cmp_eq_u64 s[12:13], 0
	s_mov_b64 s[4:5], 0
	s_cbranch_scc1 .LBB4_558
; %bb.556:                              ;   in Loop: Header=BB4_548 Depth=1
	v_mov_b32_e32 v8, 0
	v_mov_b32_e32 v9, 0
	s_lshl_b64 s[16:17], s[14:15], 3
	s_mov_b64 s[18:19], s[8:9]
.LBB4_557:                              ;   Parent Loop BB4_548 Depth=1
                                        ; =>  This Inner Loop Header: Depth=2
	global_load_ubyte v2, v3, s[18:19]
	s_waitcnt vmcnt(0)
	v_and_b32_e32 v2, 0xffff, v2
	v_lshlrev_b64 v[10:11], s4, v[2:3]
	s_add_u32 s4, s4, 8
	s_addc_u32 s5, s5, 0
	s_add_u32 s18, s18, 1
	s_addc_u32 s19, s19, 0
	s_cmp_lg_u32 s16, s4
	v_or_b32_e32 v8, v10, v8
	v_or_b32_e32 v9, v11, v9
	s_cbranch_scc1 .LBB4_557
.LBB4_558:                              ;   in Loop: Header=BB4_548 Depth=1
	s_mov_b32 s22, 0
	s_mov_b64 s[4:5], s[8:9]
	s_cbranch_execnz .LBB4_550
.LBB4_559:                              ;   in Loop: Header=BB4_548 Depth=1
	global_load_dwordx2 v[8:9], v3, s[8:9]
	s_add_i32 s22, s14, -8
	s_add_u32 s4, s8, 8
	s_addc_u32 s5, s9, 0
	s_cmp_gt_u32 s22, 7
	s_cbranch_scc0 .LBB4_551
.LBB4_560:                              ;   in Loop: Header=BB4_548 Depth=1
                                        ; implicit-def: $vgpr10_vgpr11
                                        ; implicit-def: $sgpr23
.LBB4_561:                              ;   in Loop: Header=BB4_548 Depth=1
	global_load_dwordx2 v[10:11], v3, s[4:5]
	s_add_i32 s23, s22, -8
	s_add_u32 s4, s4, 8
	s_addc_u32 s5, s5, 0
.LBB4_562:                              ;   in Loop: Header=BB4_548 Depth=1
	s_cmp_gt_u32 s23, 7
	s_cbranch_scc1 .LBB4_567
; %bb.563:                              ;   in Loop: Header=BB4_548 Depth=1
	v_mov_b32_e32 v12, 0
	v_mov_b32_e32 v13, 0
	s_cmp_eq_u32 s23, 0
	s_cbranch_scc1 .LBB4_566
; %bb.564:                              ;   in Loop: Header=BB4_548 Depth=1
	s_mov_b64 s[16:17], 0
	s_mov_b64 s[18:19], 0
.LBB4_565:                              ;   Parent Loop BB4_548 Depth=1
                                        ; =>  This Inner Loop Header: Depth=2
	s_add_u32 s24, s4, s18
	s_addc_u32 s25, s5, s19
	s_add_u32 s18, s18, 1
	global_load_ubyte v2, v3, s[24:25]
	s_addc_u32 s19, s19, 0
	s_waitcnt vmcnt(0)
	v_and_b32_e32 v2, 0xffff, v2
	v_lshlrev_b64 v[14:15], s16, v[2:3]
	s_add_u32 s16, s16, 8
	s_addc_u32 s17, s17, 0
	s_cmp_lg_u32 s23, s18
	v_or_b32_e32 v12, v14, v12
	v_or_b32_e32 v13, v15, v13
	s_cbranch_scc1 .LBB4_565
.LBB4_566:                              ;   in Loop: Header=BB4_548 Depth=1
	s_mov_b32 s22, 0
	s_cbranch_execz .LBB4_568
	s_branch .LBB4_569
.LBB4_567:                              ;   in Loop: Header=BB4_548 Depth=1
                                        ; implicit-def: $sgpr22
.LBB4_568:                              ;   in Loop: Header=BB4_548 Depth=1
	global_load_dwordx2 v[12:13], v3, s[4:5]
	s_add_i32 s22, s23, -8
	s_add_u32 s4, s4, 8
	s_addc_u32 s5, s5, 0
.LBB4_569:                              ;   in Loop: Header=BB4_548 Depth=1
	s_cmp_gt_u32 s22, 7
	s_cbranch_scc1 .LBB4_574
; %bb.570:                              ;   in Loop: Header=BB4_548 Depth=1
	v_mov_b32_e32 v14, 0
	v_mov_b32_e32 v15, 0
	s_cmp_eq_u32 s22, 0
	s_cbranch_scc1 .LBB4_573
; %bb.571:                              ;   in Loop: Header=BB4_548 Depth=1
	s_mov_b64 s[16:17], 0
	s_mov_b64 s[18:19], 0
.LBB4_572:                              ;   Parent Loop BB4_548 Depth=1
                                        ; =>  This Inner Loop Header: Depth=2
	s_add_u32 s24, s4, s18
	s_addc_u32 s25, s5, s19
	s_add_u32 s18, s18, 1
	global_load_ubyte v2, v3, s[24:25]
	s_addc_u32 s19, s19, 0
	s_waitcnt vmcnt(0)
	v_and_b32_e32 v2, 0xffff, v2
	v_lshlrev_b64 v[16:17], s16, v[2:3]
	s_add_u32 s16, s16, 8
	s_addc_u32 s17, s17, 0
	s_cmp_lg_u32 s22, s18
	v_or_b32_e32 v14, v16, v14
	v_or_b32_e32 v15, v17, v15
	s_cbranch_scc1 .LBB4_572
.LBB4_573:                              ;   in Loop: Header=BB4_548 Depth=1
	s_mov_b32 s23, 0
	s_cbranch_execz .LBB4_575
	s_branch .LBB4_576
.LBB4_574:                              ;   in Loop: Header=BB4_548 Depth=1
                                        ; implicit-def: $vgpr14_vgpr15
                                        ; implicit-def: $sgpr23
.LBB4_575:                              ;   in Loop: Header=BB4_548 Depth=1
	global_load_dwordx2 v[14:15], v3, s[4:5]
	s_add_i32 s23, s22, -8
	s_add_u32 s4, s4, 8
	s_addc_u32 s5, s5, 0
.LBB4_576:                              ;   in Loop: Header=BB4_548 Depth=1
	s_cmp_gt_u32 s23, 7
	s_cbranch_scc1 .LBB4_581
; %bb.577:                              ;   in Loop: Header=BB4_548 Depth=1
	v_mov_b32_e32 v16, 0
	v_mov_b32_e32 v17, 0
	s_cmp_eq_u32 s23, 0
	s_cbranch_scc1 .LBB4_580
; %bb.578:                              ;   in Loop: Header=BB4_548 Depth=1
	s_mov_b64 s[16:17], 0
	s_mov_b64 s[18:19], 0
.LBB4_579:                              ;   Parent Loop BB4_548 Depth=1
                                        ; =>  This Inner Loop Header: Depth=2
	s_add_u32 s24, s4, s18
	s_addc_u32 s25, s5, s19
	s_add_u32 s18, s18, 1
	global_load_ubyte v2, v3, s[24:25]
	s_addc_u32 s19, s19, 0
	s_waitcnt vmcnt(0)
	v_and_b32_e32 v2, 0xffff, v2
	v_lshlrev_b64 v[18:19], s16, v[2:3]
	s_add_u32 s16, s16, 8
	s_addc_u32 s17, s17, 0
	s_cmp_lg_u32 s23, s18
	v_or_b32_e32 v16, v18, v16
	v_or_b32_e32 v17, v19, v17
	s_cbranch_scc1 .LBB4_579
.LBB4_580:                              ;   in Loop: Header=BB4_548 Depth=1
	s_mov_b32 s22, 0
	s_cbranch_execz .LBB4_582
	s_branch .LBB4_583
.LBB4_581:                              ;   in Loop: Header=BB4_548 Depth=1
                                        ; implicit-def: $sgpr22
.LBB4_582:                              ;   in Loop: Header=BB4_548 Depth=1
	global_load_dwordx2 v[16:17], v3, s[4:5]
	s_add_i32 s22, s23, -8
	s_add_u32 s4, s4, 8
	s_addc_u32 s5, s5, 0
.LBB4_583:                              ;   in Loop: Header=BB4_548 Depth=1
	s_cmp_gt_u32 s22, 7
	s_cbranch_scc1 .LBB4_588
; %bb.584:                              ;   in Loop: Header=BB4_548 Depth=1
	v_mov_b32_e32 v18, 0
	v_mov_b32_e32 v19, 0
	s_cmp_eq_u32 s22, 0
	s_cbranch_scc1 .LBB4_587
; %bb.585:                              ;   in Loop: Header=BB4_548 Depth=1
	s_mov_b64 s[16:17], 0
	s_mov_b64 s[18:19], 0
.LBB4_586:                              ;   Parent Loop BB4_548 Depth=1
                                        ; =>  This Inner Loop Header: Depth=2
	s_add_u32 s24, s4, s18
	s_addc_u32 s25, s5, s19
	s_add_u32 s18, s18, 1
	global_load_ubyte v2, v3, s[24:25]
	s_addc_u32 s19, s19, 0
	s_waitcnt vmcnt(0)
	v_and_b32_e32 v2, 0xffff, v2
	v_lshlrev_b64 v[20:21], s16, v[2:3]
	s_add_u32 s16, s16, 8
	s_addc_u32 s17, s17, 0
	s_cmp_lg_u32 s22, s18
	v_or_b32_e32 v18, v20, v18
	v_or_b32_e32 v19, v21, v19
	s_cbranch_scc1 .LBB4_586
.LBB4_587:                              ;   in Loop: Header=BB4_548 Depth=1
	s_mov_b32 s23, 0
	s_cbranch_execz .LBB4_589
	s_branch .LBB4_590
.LBB4_588:                              ;   in Loop: Header=BB4_548 Depth=1
                                        ; implicit-def: $vgpr18_vgpr19
                                        ; implicit-def: $sgpr23
.LBB4_589:                              ;   in Loop: Header=BB4_548 Depth=1
	global_load_dwordx2 v[18:19], v3, s[4:5]
	s_add_i32 s23, s22, -8
	s_add_u32 s4, s4, 8
	s_addc_u32 s5, s5, 0
.LBB4_590:                              ;   in Loop: Header=BB4_548 Depth=1
	s_cmp_gt_u32 s23, 7
	s_cbranch_scc1 .LBB4_595
; %bb.591:                              ;   in Loop: Header=BB4_548 Depth=1
	v_mov_b32_e32 v20, 0
	v_mov_b32_e32 v21, 0
	s_cmp_eq_u32 s23, 0
	s_cbranch_scc1 .LBB4_594
; %bb.592:                              ;   in Loop: Header=BB4_548 Depth=1
	s_mov_b64 s[16:17], 0
	s_mov_b64 s[18:19], s[4:5]
.LBB4_593:                              ;   Parent Loop BB4_548 Depth=1
                                        ; =>  This Inner Loop Header: Depth=2
	global_load_ubyte v2, v3, s[18:19]
	s_add_i32 s23, s23, -1
	s_waitcnt vmcnt(0)
	v_and_b32_e32 v2, 0xffff, v2
	v_lshlrev_b64 v[22:23], s16, v[2:3]
	s_add_u32 s16, s16, 8
	s_addc_u32 s17, s17, 0
	s_add_u32 s18, s18, 1
	s_addc_u32 s19, s19, 0
	s_cmp_lg_u32 s23, 0
	v_or_b32_e32 v20, v22, v20
	v_or_b32_e32 v21, v23, v21
	s_cbranch_scc1 .LBB4_593
.LBB4_594:                              ;   in Loop: Header=BB4_548 Depth=1
	s_cbranch_execz .LBB4_596
	s_branch .LBB4_597
.LBB4_595:                              ;   in Loop: Header=BB4_548 Depth=1
.LBB4_596:                              ;   in Loop: Header=BB4_548 Depth=1
	global_load_dwordx2 v[20:21], v3, s[4:5]
.LBB4_597:                              ;   in Loop: Header=BB4_548 Depth=1
	v_readfirstlane_b32 s4, v37
	v_mov_b32_e32 v26, 0
	v_mov_b32_e32 v27, 0
	v_cmp_eq_u32_e64 s4, s4, v37
	s_and_saveexec_b32 s5, s4
	s_cbranch_execz .LBB4_603
; %bb.598:                              ;   in Loop: Header=BB4_548 Depth=1
	global_load_dwordx2 v[24:25], v3, s[26:27] offset:24 glc dlc
	s_waitcnt vmcnt(0)
	buffer_gl1_inv
	buffer_gl0_inv
	s_clause 0x1
	global_load_dwordx2 v[22:23], v3, s[26:27] offset:40
	global_load_dwordx2 v[26:27], v3, s[26:27]
	s_mov_b32 s16, exec_lo
	s_waitcnt vmcnt(1)
	v_and_b32_e32 v2, v23, v25
	v_and_b32_e32 v22, v22, v24
	v_mul_lo_u32 v2, v2, 24
	v_mul_hi_u32 v23, v22, 24
	v_mul_lo_u32 v22, v22, 24
	v_add_nc_u32_e32 v2, v23, v2
	s_waitcnt vmcnt(0)
	v_add_co_u32 v22, vcc_lo, v26, v22
	v_add_co_ci_u32_e32 v23, vcc_lo, v27, v2, vcc_lo
	global_load_dwordx2 v[22:23], v[22:23], off glc dlc
	s_waitcnt vmcnt(0)
	global_atomic_cmpswap_x2 v[26:27], v3, v[22:25], s[26:27] offset:24 glc
	s_waitcnt vmcnt(0)
	buffer_gl1_inv
	buffer_gl0_inv
	v_cmpx_ne_u64_e64 v[26:27], v[24:25]
	s_cbranch_execz .LBB4_602
; %bb.599:                              ;   in Loop: Header=BB4_548 Depth=1
	s_mov_b32 s17, 0
	.p2align	6
.LBB4_600:                              ;   Parent Loop BB4_548 Depth=1
                                        ; =>  This Inner Loop Header: Depth=2
	s_sleep 1
	s_clause 0x1
	global_load_dwordx2 v[22:23], v3, s[26:27] offset:40
	global_load_dwordx2 v[28:29], v3, s[26:27]
	v_mov_b32_e32 v24, v26
	v_mov_b32_e32 v25, v27
	s_waitcnt vmcnt(1)
	v_and_b32_e32 v2, v22, v24
	v_and_b32_e32 v22, v23, v25
	s_waitcnt vmcnt(0)
	v_mad_u64_u32 v[26:27], null, v2, 24, v[28:29]
	v_mov_b32_e32 v2, v27
	v_mad_u64_u32 v[22:23], null, v22, 24, v[2:3]
	v_mov_b32_e32 v27, v22
	global_load_dwordx2 v[22:23], v[26:27], off glc dlc
	s_waitcnt vmcnt(0)
	global_atomic_cmpswap_x2 v[26:27], v3, v[22:25], s[26:27] offset:24 glc
	s_waitcnt vmcnt(0)
	buffer_gl1_inv
	buffer_gl0_inv
	v_cmp_eq_u64_e32 vcc_lo, v[26:27], v[24:25]
	s_or_b32 s17, vcc_lo, s17
	s_andn2_b32 exec_lo, exec_lo, s17
	s_cbranch_execnz .LBB4_600
; %bb.601:                              ;   in Loop: Header=BB4_548 Depth=1
	s_or_b32 exec_lo, exec_lo, s17
.LBB4_602:                              ;   in Loop: Header=BB4_548 Depth=1
	s_or_b32 exec_lo, exec_lo, s16
.LBB4_603:                              ;   in Loop: Header=BB4_548 Depth=1
	s_or_b32 exec_lo, exec_lo, s5
	s_clause 0x1
	global_load_dwordx2 v[28:29], v3, s[26:27] offset:40
	global_load_dwordx4 v[22:25], v3, s[26:27]
	v_readfirstlane_b32 s16, v26
	v_readfirstlane_b32 s17, v27
	s_mov_b32 s5, exec_lo
	s_waitcnt vmcnt(1)
	v_readfirstlane_b32 s18, v28
	v_readfirstlane_b32 s19, v29
	s_and_b64 s[18:19], s[16:17], s[18:19]
	s_mul_i32 s22, s19, 24
	s_mul_hi_u32 s23, s18, 24
	s_mul_i32 s24, s18, 24
	s_add_i32 s23, s23, s22
	s_waitcnt vmcnt(0)
	v_add_co_u32 v26, vcc_lo, v22, s24
	v_add_co_ci_u32_e32 v27, vcc_lo, s23, v23, vcc_lo
	s_and_saveexec_b32 s22, s4
	s_cbranch_execz .LBB4_605
; %bb.604:                              ;   in Loop: Header=BB4_548 Depth=1
	v_mov_b32_e32 v2, s5
	global_store_dwordx4 v[26:27], v[2:5], off offset:8
.LBB4_605:                              ;   in Loop: Header=BB4_548 Depth=1
	s_or_b32 exec_lo, exec_lo, s22
	s_lshl_b64 s[18:19], s[18:19], 12
	v_or_b32_e32 v2, 2, v6
	v_add_co_u32 v24, vcc_lo, v24, s18
	v_add_co_ci_u32_e32 v25, vcc_lo, s19, v25, vcc_lo
	v_cmp_gt_u64_e64 vcc_lo, s[12:13], 56
	s_lshl_b32 s5, s14, 2
	v_readfirstlane_b32 s18, v24
	s_add_i32 s5, s5, 28
	v_readfirstlane_b32 s19, v25
	s_and_b32 s5, s5, 0x1e0
	v_cndmask_b32_e32 v2, v2, v6, vcc_lo
	v_and_or_b32 v6, 0xffffff1f, v2, s5
	global_store_dwordx4 v36, v[10:13], s[18:19] offset:16
	global_store_dwordx4 v36, v[6:9], s[18:19]
	global_store_dwordx4 v36, v[14:17], s[18:19] offset:32
	global_store_dwordx4 v36, v[18:21], s[18:19] offset:48
	s_and_saveexec_b32 s5, s4
	s_cbranch_execz .LBB4_613
; %bb.606:                              ;   in Loop: Header=BB4_548 Depth=1
	s_clause 0x1
	global_load_dwordx2 v[14:15], v3, s[26:27] offset:32 glc dlc
	global_load_dwordx2 v[6:7], v3, s[26:27] offset:40
	v_mov_b32_e32 v12, s16
	v_mov_b32_e32 v13, s17
	s_waitcnt vmcnt(0)
	v_readfirstlane_b32 s18, v6
	v_readfirstlane_b32 s19, v7
	s_and_b64 s[18:19], s[18:19], s[16:17]
	s_mul_i32 s19, s19, 24
	s_mul_hi_u32 s22, s18, 24
	s_mul_i32 s18, s18, 24
	s_add_i32 s22, s22, s19
	v_add_co_u32 v10, vcc_lo, v22, s18
	v_add_co_ci_u32_e32 v11, vcc_lo, s22, v23, vcc_lo
	s_mov_b32 s18, exec_lo
	global_store_dwordx2 v[10:11], v[14:15], off
	s_waitcnt_vscnt null, 0x0
	global_atomic_cmpswap_x2 v[8:9], v3, v[12:15], s[26:27] offset:32 glc
	s_waitcnt vmcnt(0)
	v_cmpx_ne_u64_e64 v[8:9], v[14:15]
	s_cbranch_execz .LBB4_609
; %bb.607:                              ;   in Loop: Header=BB4_548 Depth=1
	s_mov_b32 s19, 0
.LBB4_608:                              ;   Parent Loop BB4_548 Depth=1
                                        ; =>  This Inner Loop Header: Depth=2
	v_mov_b32_e32 v6, s16
	v_mov_b32_e32 v7, s17
	s_sleep 1
	global_store_dwordx2 v[10:11], v[8:9], off
	s_waitcnt_vscnt null, 0x0
	global_atomic_cmpswap_x2 v[6:7], v3, v[6:9], s[26:27] offset:32 glc
	s_waitcnt vmcnt(0)
	v_cmp_eq_u64_e32 vcc_lo, v[6:7], v[8:9]
	v_mov_b32_e32 v9, v7
	v_mov_b32_e32 v8, v6
	s_or_b32 s19, vcc_lo, s19
	s_andn2_b32 exec_lo, exec_lo, s19
	s_cbranch_execnz .LBB4_608
.LBB4_609:                              ;   in Loop: Header=BB4_548 Depth=1
	s_or_b32 exec_lo, exec_lo, s18
	global_load_dwordx2 v[6:7], v3, s[26:27] offset:16
	s_mov_b32 s19, exec_lo
	s_mov_b32 s18, exec_lo
	v_mbcnt_lo_u32_b32 v2, s19, 0
	v_cmpx_eq_u32_e32 0, v2
	s_cbranch_execz .LBB4_611
; %bb.610:                              ;   in Loop: Header=BB4_548 Depth=1
	s_bcnt1_i32_b32 s19, s19
	v_mov_b32_e32 v2, s19
	s_waitcnt vmcnt(0)
	global_atomic_add_x2 v[6:7], v[2:3], off offset:8
.LBB4_611:                              ;   in Loop: Header=BB4_548 Depth=1
	s_or_b32 exec_lo, exec_lo, s18
	s_waitcnt vmcnt(0)
	global_load_dwordx2 v[8:9], v[6:7], off offset:16
	s_waitcnt vmcnt(0)
	v_cmp_eq_u64_e32 vcc_lo, 0, v[8:9]
	s_cbranch_vccnz .LBB4_613
; %bb.612:                              ;   in Loop: Header=BB4_548 Depth=1
	global_load_dword v2, v[6:7], off offset:24
	s_waitcnt vmcnt(0)
	v_and_b32_e32 v6, 0x7fffff, v2
	s_waitcnt_vscnt null, 0x0
	global_store_dwordx2 v[8:9], v[2:3], off
	v_readfirstlane_b32 m0, v6
	s_sendmsg sendmsg(MSG_INTERRUPT)
.LBB4_613:                              ;   in Loop: Header=BB4_548 Depth=1
	s_or_b32 exec_lo, exec_lo, s5
	v_add_co_u32 v6, vcc_lo, v24, v36
	v_add_co_ci_u32_e32 v7, vcc_lo, 0, v25, vcc_lo
	s_branch .LBB4_617
	.p2align	6
.LBB4_614:                              ;   in Loop: Header=BB4_617 Depth=2
	s_or_b32 exec_lo, exec_lo, s5
	v_readfirstlane_b32 s5, v2
	s_cmp_eq_u32 s5, 0
	s_cbranch_scc1 .LBB4_616
; %bb.615:                              ;   in Loop: Header=BB4_617 Depth=2
	s_sleep 1
	s_cbranch_execnz .LBB4_617
	s_branch .LBB4_619
	.p2align	6
.LBB4_616:                              ;   in Loop: Header=BB4_548 Depth=1
	s_branch .LBB4_619
.LBB4_617:                              ;   Parent Loop BB4_548 Depth=1
                                        ; =>  This Inner Loop Header: Depth=2
	v_mov_b32_e32 v2, 1
	s_and_saveexec_b32 s5, s4
	s_cbranch_execz .LBB4_614
; %bb.618:                              ;   in Loop: Header=BB4_617 Depth=2
	global_load_dword v2, v[26:27], off offset:20 glc dlc
	s_waitcnt vmcnt(0)
	buffer_gl1_inv
	buffer_gl0_inv
	v_and_b32_e32 v2, 1, v2
	s_branch .LBB4_614
.LBB4_619:                              ;   in Loop: Header=BB4_548 Depth=1
	global_load_dwordx4 v[6:9], v[6:7], off
	s_and_saveexec_b32 s5, s4
	s_cbranch_execz .LBB4_547
; %bb.620:                              ;   in Loop: Header=BB4_548 Depth=1
	s_clause 0x2
	global_load_dwordx2 v[10:11], v3, s[26:27] offset:40
	global_load_dwordx2 v[14:15], v3, s[26:27] offset:24 glc dlc
	global_load_dwordx2 v[12:13], v3, s[26:27]
	s_waitcnt vmcnt(2)
	v_add_co_u32 v2, vcc_lo, v10, 1
	v_add_co_ci_u32_e32 v16, vcc_lo, 0, v11, vcc_lo
	v_add_co_u32 v8, vcc_lo, v2, s16
	v_add_co_ci_u32_e32 v9, vcc_lo, s17, v16, vcc_lo
	v_cmp_eq_u64_e32 vcc_lo, 0, v[8:9]
	v_cndmask_b32_e32 v9, v9, v16, vcc_lo
	v_cndmask_b32_e32 v8, v8, v2, vcc_lo
	v_and_b32_e32 v2, v9, v11
	v_and_b32_e32 v10, v8, v10
	v_mul_lo_u32 v2, v2, 24
	v_mul_hi_u32 v11, v10, 24
	v_mul_lo_u32 v10, v10, 24
	v_add_nc_u32_e32 v2, v11, v2
	s_waitcnt vmcnt(0)
	v_add_co_u32 v12, vcc_lo, v12, v10
	v_mov_b32_e32 v10, v14
	v_mov_b32_e32 v11, v15
	v_add_co_ci_u32_e32 v13, vcc_lo, v13, v2, vcc_lo
	global_store_dwordx2 v[12:13], v[14:15], off
	s_waitcnt_vscnt null, 0x0
	global_atomic_cmpswap_x2 v[10:11], v3, v[8:11], s[26:27] offset:24 glc
	s_waitcnt vmcnt(0)
	v_cmp_ne_u64_e32 vcc_lo, v[10:11], v[14:15]
	s_and_b32 exec_lo, exec_lo, vcc_lo
	s_cbranch_execz .LBB4_547
; %bb.621:                              ;   in Loop: Header=BB4_548 Depth=1
	s_mov_b32 s4, 0
.LBB4_622:                              ;   Parent Loop BB4_548 Depth=1
                                        ; =>  This Inner Loop Header: Depth=2
	s_sleep 1
	global_store_dwordx2 v[12:13], v[10:11], off
	s_waitcnt_vscnt null, 0x0
	global_atomic_cmpswap_x2 v[14:15], v3, v[8:11], s[26:27] offset:24 glc
	s_waitcnt vmcnt(0)
	v_cmp_eq_u64_e32 vcc_lo, v[14:15], v[10:11]
	v_mov_b32_e32 v10, v14
	v_mov_b32_e32 v11, v15
	s_or_b32 s4, vcc_lo, s4
	s_andn2_b32 exec_lo, exec_lo, s4
	s_cbranch_execnz .LBB4_622
	s_branch .LBB4_547
.LBB4_623:
	s_branch .LBB4_652
.LBB4_624:
	s_cbranch_execz .LBB4_652
; %bb.625:
	v_readfirstlane_b32 s4, v37
	s_waitcnt vmcnt(0)
	v_mov_b32_e32 v8, 0
	v_mov_b32_e32 v9, 0
	v_cmp_eq_u32_e64 s4, s4, v37
	s_and_saveexec_b32 s5, s4
	s_cbranch_execz .LBB4_631
; %bb.626:
	v_mov_b32_e32 v2, 0
	s_mov_b32 s8, exec_lo
	global_load_dwordx2 v[5:6], v2, s[26:27] offset:24 glc dlc
	s_waitcnt vmcnt(0)
	buffer_gl1_inv
	buffer_gl0_inv
	s_clause 0x1
	global_load_dwordx2 v[3:4], v2, s[26:27] offset:40
	global_load_dwordx2 v[7:8], v2, s[26:27]
	s_waitcnt vmcnt(1)
	v_and_b32_e32 v4, v4, v6
	v_and_b32_e32 v3, v3, v5
	v_mul_lo_u32 v4, v4, 24
	v_mul_hi_u32 v9, v3, 24
	v_mul_lo_u32 v3, v3, 24
	v_add_nc_u32_e32 v4, v9, v4
	s_waitcnt vmcnt(0)
	v_add_co_u32 v3, vcc_lo, v7, v3
	v_add_co_ci_u32_e32 v4, vcc_lo, v8, v4, vcc_lo
	global_load_dwordx2 v[3:4], v[3:4], off glc dlc
	s_waitcnt vmcnt(0)
	global_atomic_cmpswap_x2 v[8:9], v2, v[3:6], s[26:27] offset:24 glc
	s_waitcnt vmcnt(0)
	buffer_gl1_inv
	buffer_gl0_inv
	v_cmpx_ne_u64_e64 v[8:9], v[5:6]
	s_cbranch_execz .LBB4_630
; %bb.627:
	s_mov_b32 s9, 0
.LBB4_628:                              ; =>This Inner Loop Header: Depth=1
	s_sleep 1
	s_clause 0x1
	global_load_dwordx2 v[3:4], v2, s[26:27] offset:40
	global_load_dwordx2 v[10:11], v2, s[26:27]
	v_mov_b32_e32 v5, v8
	v_mov_b32_e32 v6, v9
	s_waitcnt vmcnt(1)
	v_and_b32_e32 v3, v3, v5
	v_and_b32_e32 v4, v4, v6
	s_waitcnt vmcnt(0)
	v_mad_u64_u32 v[7:8], null, v3, 24, v[10:11]
	v_mov_b32_e32 v3, v8
	v_mad_u64_u32 v[3:4], null, v4, 24, v[3:4]
	v_mov_b32_e32 v8, v3
	global_load_dwordx2 v[3:4], v[7:8], off glc dlc
	s_waitcnt vmcnt(0)
	global_atomic_cmpswap_x2 v[8:9], v2, v[3:6], s[26:27] offset:24 glc
	s_waitcnt vmcnt(0)
	buffer_gl1_inv
	buffer_gl0_inv
	v_cmp_eq_u64_e32 vcc_lo, v[8:9], v[5:6]
	s_or_b32 s9, vcc_lo, s9
	s_andn2_b32 exec_lo, exec_lo, s9
	s_cbranch_execnz .LBB4_628
; %bb.629:
	s_or_b32 exec_lo, exec_lo, s9
.LBB4_630:
	s_or_b32 exec_lo, exec_lo, s8
.LBB4_631:
	s_or_b32 exec_lo, exec_lo, s5
	v_mov_b32_e32 v2, 0
	v_readfirstlane_b32 s8, v8
	v_readfirstlane_b32 s9, v9
	s_mov_b32 s5, exec_lo
	s_clause 0x1
	global_load_dwordx2 v[10:11], v2, s[26:27] offset:40
	global_load_dwordx4 v[4:7], v2, s[26:27]
	s_waitcnt vmcnt(1)
	v_readfirstlane_b32 s12, v10
	v_readfirstlane_b32 s13, v11
	s_and_b64 s[12:13], s[8:9], s[12:13]
	s_mul_i32 s14, s13, 24
	s_mul_hi_u32 s15, s12, 24
	s_mul_i32 s16, s12, 24
	s_add_i32 s15, s15, s14
	s_waitcnt vmcnt(0)
	v_add_co_u32 v8, vcc_lo, v4, s16
	v_add_co_ci_u32_e32 v9, vcc_lo, s15, v5, vcc_lo
	s_and_saveexec_b32 s14, s4
	s_cbranch_execz .LBB4_633
; %bb.632:
	v_mov_b32_e32 v10, s5
	v_mov_b32_e32 v11, v2
	v_mov_b32_e32 v12, 2
	v_mov_b32_e32 v13, 1
	global_store_dwordx4 v[8:9], v[10:13], off offset:8
.LBB4_633:
	s_or_b32 exec_lo, exec_lo, s14
	s_lshl_b64 s[12:13], s[12:13], 12
	v_and_or_b32 v0, 0xffffff1d, v0, 34
	v_add_co_u32 v6, vcc_lo, v6, s12
	v_add_co_ci_u32_e32 v7, vcc_lo, s13, v7, vcc_lo
	s_mov_b32 s12, 0
	v_mov_b32_e32 v3, v2
	s_mov_b32 s13, s12
	s_mov_b32 s14, s12
	;; [unrolled: 1-line block ×3, first 2 shown]
	v_readfirstlane_b32 s16, v6
	v_readfirstlane_b32 s17, v7
	v_mov_b32_e32 v10, s12
	v_mov_b32_e32 v11, s13
	;; [unrolled: 1-line block ×4, first 2 shown]
	global_store_dwordx4 v36, v[0:3], s[16:17]
	global_store_dwordx4 v36, v[10:13], s[16:17] offset:16
	global_store_dwordx4 v36, v[10:13], s[16:17] offset:32
	;; [unrolled: 1-line block ×3, first 2 shown]
	s_and_saveexec_b32 s5, s4
	s_cbranch_execz .LBB4_641
; %bb.634:
	v_mov_b32_e32 v6, 0
	v_mov_b32_e32 v10, s8
	v_mov_b32_e32 v11, s9
	s_clause 0x1
	global_load_dwordx2 v[12:13], v6, s[26:27] offset:32 glc dlc
	global_load_dwordx2 v[0:1], v6, s[26:27] offset:40
	s_waitcnt vmcnt(0)
	v_readfirstlane_b32 s12, v0
	v_readfirstlane_b32 s13, v1
	s_and_b64 s[12:13], s[12:13], s[8:9]
	s_mul_i32 s13, s13, 24
	s_mul_hi_u32 s14, s12, 24
	s_mul_i32 s12, s12, 24
	s_add_i32 s14, s14, s13
	v_add_co_u32 v4, vcc_lo, v4, s12
	v_add_co_ci_u32_e32 v5, vcc_lo, s14, v5, vcc_lo
	s_mov_b32 s12, exec_lo
	global_store_dwordx2 v[4:5], v[12:13], off
	s_waitcnt_vscnt null, 0x0
	global_atomic_cmpswap_x2 v[2:3], v6, v[10:13], s[26:27] offset:32 glc
	s_waitcnt vmcnt(0)
	v_cmpx_ne_u64_e64 v[2:3], v[12:13]
	s_cbranch_execz .LBB4_637
; %bb.635:
	s_mov_b32 s13, 0
.LBB4_636:                              ; =>This Inner Loop Header: Depth=1
	v_mov_b32_e32 v0, s8
	v_mov_b32_e32 v1, s9
	s_sleep 1
	global_store_dwordx2 v[4:5], v[2:3], off
	s_waitcnt_vscnt null, 0x0
	global_atomic_cmpswap_x2 v[0:1], v6, v[0:3], s[26:27] offset:32 glc
	s_waitcnt vmcnt(0)
	v_cmp_eq_u64_e32 vcc_lo, v[0:1], v[2:3]
	v_mov_b32_e32 v3, v1
	v_mov_b32_e32 v2, v0
	s_or_b32 s13, vcc_lo, s13
	s_andn2_b32 exec_lo, exec_lo, s13
	s_cbranch_execnz .LBB4_636
.LBB4_637:
	s_or_b32 exec_lo, exec_lo, s12
	v_mov_b32_e32 v3, 0
	s_mov_b32 s13, exec_lo
	s_mov_b32 s12, exec_lo
	v_mbcnt_lo_u32_b32 v2, s13, 0
	global_load_dwordx2 v[0:1], v3, s[26:27] offset:16
	v_cmpx_eq_u32_e32 0, v2
	s_cbranch_execz .LBB4_639
; %bb.638:
	s_bcnt1_i32_b32 s13, s13
	v_mov_b32_e32 v2, s13
	s_waitcnt vmcnt(0)
	global_atomic_add_x2 v[0:1], v[2:3], off offset:8
.LBB4_639:
	s_or_b32 exec_lo, exec_lo, s12
	s_waitcnt vmcnt(0)
	global_load_dwordx2 v[2:3], v[0:1], off offset:16
	s_waitcnt vmcnt(0)
	v_cmp_eq_u64_e32 vcc_lo, 0, v[2:3]
	s_cbranch_vccnz .LBB4_641
; %bb.640:
	global_load_dword v0, v[0:1], off offset:24
	v_mov_b32_e32 v1, 0
	s_waitcnt vmcnt(0)
	v_and_b32_e32 v4, 0x7fffff, v0
	s_waitcnt_vscnt null, 0x0
	global_store_dwordx2 v[2:3], v[0:1], off
	v_readfirstlane_b32 m0, v4
	s_sendmsg sendmsg(MSG_INTERRUPT)
.LBB4_641:
	s_or_b32 exec_lo, exec_lo, s5
	s_branch .LBB4_645
	.p2align	6
.LBB4_642:                              ;   in Loop: Header=BB4_645 Depth=1
	s_or_b32 exec_lo, exec_lo, s5
	v_readfirstlane_b32 s5, v0
	s_cmp_eq_u32 s5, 0
	s_cbranch_scc1 .LBB4_644
; %bb.643:                              ;   in Loop: Header=BB4_645 Depth=1
	s_sleep 1
	s_cbranch_execnz .LBB4_645
	s_branch .LBB4_647
	.p2align	6
.LBB4_644:
	s_branch .LBB4_647
.LBB4_645:                              ; =>This Inner Loop Header: Depth=1
	v_mov_b32_e32 v0, 1
	s_and_saveexec_b32 s5, s4
	s_cbranch_execz .LBB4_642
; %bb.646:                              ;   in Loop: Header=BB4_645 Depth=1
	global_load_dword v0, v[8:9], off offset:20 glc dlc
	s_waitcnt vmcnt(0)
	buffer_gl1_inv
	buffer_gl0_inv
	v_and_b32_e32 v0, 1, v0
	s_branch .LBB4_642
.LBB4_647:
	s_and_saveexec_b32 s5, s4
	s_cbranch_execz .LBB4_651
; %bb.648:
	v_mov_b32_e32 v6, 0
	s_clause 0x2
	global_load_dwordx2 v[2:3], v6, s[26:27] offset:40
	global_load_dwordx2 v[7:8], v6, s[26:27] offset:24 glc dlc
	global_load_dwordx2 v[4:5], v6, s[26:27]
	s_waitcnt vmcnt(2)
	v_add_co_u32 v9, vcc_lo, v2, 1
	v_add_co_ci_u32_e32 v10, vcc_lo, 0, v3, vcc_lo
	v_add_co_u32 v0, vcc_lo, v9, s8
	v_add_co_ci_u32_e32 v1, vcc_lo, s9, v10, vcc_lo
	v_cmp_eq_u64_e32 vcc_lo, 0, v[0:1]
	v_cndmask_b32_e32 v1, v1, v10, vcc_lo
	v_cndmask_b32_e32 v0, v0, v9, vcc_lo
	v_and_b32_e32 v3, v1, v3
	v_and_b32_e32 v2, v0, v2
	v_mul_lo_u32 v3, v3, 24
	v_mul_hi_u32 v9, v2, 24
	v_mul_lo_u32 v2, v2, 24
	v_add_nc_u32_e32 v3, v9, v3
	s_waitcnt vmcnt(0)
	v_add_co_u32 v4, vcc_lo, v4, v2
	v_mov_b32_e32 v2, v7
	v_add_co_ci_u32_e32 v5, vcc_lo, v5, v3, vcc_lo
	v_mov_b32_e32 v3, v8
	global_store_dwordx2 v[4:5], v[7:8], off
	s_waitcnt_vscnt null, 0x0
	global_atomic_cmpswap_x2 v[2:3], v6, v[0:3], s[26:27] offset:24 glc
	s_waitcnt vmcnt(0)
	v_cmp_ne_u64_e32 vcc_lo, v[2:3], v[7:8]
	s_and_b32 exec_lo, exec_lo, vcc_lo
	s_cbranch_execz .LBB4_651
; %bb.649:
	s_mov_b32 s4, 0
.LBB4_650:                              ; =>This Inner Loop Header: Depth=1
	s_sleep 1
	global_store_dwordx2 v[4:5], v[2:3], off
	s_waitcnt_vscnt null, 0x0
	global_atomic_cmpswap_x2 v[7:8], v6, v[0:3], s[26:27] offset:24 glc
	s_waitcnt vmcnt(0)
	v_cmp_eq_u64_e32 vcc_lo, v[7:8], v[2:3]
	v_mov_b32_e32 v2, v7
	v_mov_b32_e32 v3, v8
	s_or_b32 s4, vcc_lo, s4
	s_andn2_b32 exec_lo, exec_lo, s4
	s_cbranch_execnz .LBB4_650
.LBB4_651:
	s_or_b32 exec_lo, exec_lo, s5
.LBB4_652:
	v_readfirstlane_b32 s4, v37
	s_waitcnt vmcnt(0)
	v_mov_b32_e32 v6, 0
	v_mov_b32_e32 v7, 0
	v_cmp_eq_u32_e64 s4, s4, v37
	s_and_saveexec_b32 s5, s4
	s_cbranch_execz .LBB4_658
; %bb.653:
	v_mov_b32_e32 v0, 0
	s_mov_b32 s8, exec_lo
	global_load_dwordx2 v[3:4], v0, s[26:27] offset:24 glc dlc
	s_waitcnt vmcnt(0)
	buffer_gl1_inv
	buffer_gl0_inv
	s_clause 0x1
	global_load_dwordx2 v[1:2], v0, s[26:27] offset:40
	global_load_dwordx2 v[5:6], v0, s[26:27]
	s_waitcnt vmcnt(1)
	v_and_b32_e32 v2, v2, v4
	v_and_b32_e32 v1, v1, v3
	v_mul_lo_u32 v2, v2, 24
	v_mul_hi_u32 v7, v1, 24
	v_mul_lo_u32 v1, v1, 24
	v_add_nc_u32_e32 v2, v7, v2
	s_waitcnt vmcnt(0)
	v_add_co_u32 v1, vcc_lo, v5, v1
	v_add_co_ci_u32_e32 v2, vcc_lo, v6, v2, vcc_lo
	global_load_dwordx2 v[1:2], v[1:2], off glc dlc
	s_waitcnt vmcnt(0)
	global_atomic_cmpswap_x2 v[6:7], v0, v[1:4], s[26:27] offset:24 glc
	s_waitcnt vmcnt(0)
	buffer_gl1_inv
	buffer_gl0_inv
	v_cmpx_ne_u64_e64 v[6:7], v[3:4]
	s_cbranch_execz .LBB4_657
; %bb.654:
	s_mov_b32 s9, 0
	.p2align	6
.LBB4_655:                              ; =>This Inner Loop Header: Depth=1
	s_sleep 1
	s_clause 0x1
	global_load_dwordx2 v[1:2], v0, s[26:27] offset:40
	global_load_dwordx2 v[8:9], v0, s[26:27]
	v_mov_b32_e32 v3, v6
	v_mov_b32_e32 v4, v7
	s_waitcnt vmcnt(1)
	v_and_b32_e32 v1, v1, v3
	v_and_b32_e32 v2, v2, v4
	s_waitcnt vmcnt(0)
	v_mad_u64_u32 v[5:6], null, v1, 24, v[8:9]
	v_mov_b32_e32 v1, v6
	v_mad_u64_u32 v[1:2], null, v2, 24, v[1:2]
	v_mov_b32_e32 v6, v1
	global_load_dwordx2 v[1:2], v[5:6], off glc dlc
	s_waitcnt vmcnt(0)
	global_atomic_cmpswap_x2 v[6:7], v0, v[1:4], s[26:27] offset:24 glc
	s_waitcnt vmcnt(0)
	buffer_gl1_inv
	buffer_gl0_inv
	v_cmp_eq_u64_e32 vcc_lo, v[6:7], v[3:4]
	s_or_b32 s9, vcc_lo, s9
	s_andn2_b32 exec_lo, exec_lo, s9
	s_cbranch_execnz .LBB4_655
; %bb.656:
	s_or_b32 exec_lo, exec_lo, s9
.LBB4_657:
	s_or_b32 exec_lo, exec_lo, s8
.LBB4_658:
	s_or_b32 exec_lo, exec_lo, s5
	v_mov_b32_e32 v5, 0
	v_readfirstlane_b32 s8, v6
	v_readfirstlane_b32 s9, v7
	s_mov_b32 s5, exec_lo
	s_clause 0x1
	global_load_dwordx2 v[8:9], v5, s[26:27] offset:40
	global_load_dwordx4 v[0:3], v5, s[26:27]
	s_waitcnt vmcnt(1)
	v_readfirstlane_b32 s12, v8
	v_readfirstlane_b32 s13, v9
	s_and_b64 s[12:13], s[8:9], s[12:13]
	s_mul_i32 s14, s13, 24
	s_mul_hi_u32 s15, s12, 24
	s_mul_i32 s16, s12, 24
	s_add_i32 s15, s15, s14
	s_waitcnt vmcnt(0)
	v_add_co_u32 v8, vcc_lo, v0, s16
	v_add_co_ci_u32_e32 v9, vcc_lo, s15, v1, vcc_lo
	s_and_saveexec_b32 s14, s4
	s_cbranch_execz .LBB4_660
; %bb.659:
	v_mov_b32_e32 v4, s5
	v_mov_b32_e32 v6, 2
	;; [unrolled: 1-line block ×3, first 2 shown]
	global_store_dwordx4 v[8:9], v[4:7], off offset:8
.LBB4_660:
	s_or_b32 exec_lo, exec_lo, s14
	s_lshl_b64 s[12:13], s[12:13], 12
	v_mov_b32_e32 v4, 33
	v_add_co_u32 v2, vcc_lo, v2, s12
	v_add_co_ci_u32_e32 v3, vcc_lo, s13, v3, vcc_lo
	s_mov_b32 s12, 0
	v_add_co_u32 v10, vcc_lo, v2, v36
	s_mov_b32 s13, s12
	s_mov_b32 s14, s12
	;; [unrolled: 1-line block ×3, first 2 shown]
	v_mov_b32_e32 v6, v5
	v_mov_b32_e32 v7, v5
	v_readfirstlane_b32 s16, v2
	v_readfirstlane_b32 s17, v3
	v_mov_b32_e32 v12, s12
	v_add_co_ci_u32_e32 v11, vcc_lo, 0, v3, vcc_lo
	v_mov_b32_e32 v13, s13
	v_mov_b32_e32 v14, s14
	;; [unrolled: 1-line block ×3, first 2 shown]
	global_store_dwordx4 v36, v[4:7], s[16:17]
	global_store_dwordx4 v36, v[12:15], s[16:17] offset:16
	global_store_dwordx4 v36, v[12:15], s[16:17] offset:32
	;; [unrolled: 1-line block ×3, first 2 shown]
	s_and_saveexec_b32 s5, s4
	s_cbranch_execz .LBB4_668
; %bb.661:
	v_mov_b32_e32 v6, 0
	v_mov_b32_e32 v12, s8
	;; [unrolled: 1-line block ×3, first 2 shown]
	s_clause 0x1
	global_load_dwordx2 v[14:15], v6, s[26:27] offset:32 glc dlc
	global_load_dwordx2 v[2:3], v6, s[26:27] offset:40
	s_waitcnt vmcnt(0)
	v_readfirstlane_b32 s12, v2
	v_readfirstlane_b32 s13, v3
	s_and_b64 s[12:13], s[12:13], s[8:9]
	s_mul_i32 s13, s13, 24
	s_mul_hi_u32 s14, s12, 24
	s_mul_i32 s12, s12, 24
	s_add_i32 s14, s14, s13
	v_add_co_u32 v4, vcc_lo, v0, s12
	v_add_co_ci_u32_e32 v5, vcc_lo, s14, v1, vcc_lo
	s_mov_b32 s12, exec_lo
	global_store_dwordx2 v[4:5], v[14:15], off
	s_waitcnt_vscnt null, 0x0
	global_atomic_cmpswap_x2 v[2:3], v6, v[12:15], s[26:27] offset:32 glc
	s_waitcnt vmcnt(0)
	v_cmpx_ne_u64_e64 v[2:3], v[14:15]
	s_cbranch_execz .LBB4_664
; %bb.662:
	s_mov_b32 s13, 0
.LBB4_663:                              ; =>This Inner Loop Header: Depth=1
	v_mov_b32_e32 v0, s8
	v_mov_b32_e32 v1, s9
	s_sleep 1
	global_store_dwordx2 v[4:5], v[2:3], off
	s_waitcnt_vscnt null, 0x0
	global_atomic_cmpswap_x2 v[0:1], v6, v[0:3], s[26:27] offset:32 glc
	s_waitcnt vmcnt(0)
	v_cmp_eq_u64_e32 vcc_lo, v[0:1], v[2:3]
	v_mov_b32_e32 v3, v1
	v_mov_b32_e32 v2, v0
	s_or_b32 s13, vcc_lo, s13
	s_andn2_b32 exec_lo, exec_lo, s13
	s_cbranch_execnz .LBB4_663
.LBB4_664:
	s_or_b32 exec_lo, exec_lo, s12
	v_mov_b32_e32 v3, 0
	s_mov_b32 s13, exec_lo
	s_mov_b32 s12, exec_lo
	v_mbcnt_lo_u32_b32 v2, s13, 0
	global_load_dwordx2 v[0:1], v3, s[26:27] offset:16
	v_cmpx_eq_u32_e32 0, v2
	s_cbranch_execz .LBB4_666
; %bb.665:
	s_bcnt1_i32_b32 s13, s13
	v_mov_b32_e32 v2, s13
	s_waitcnt vmcnt(0)
	global_atomic_add_x2 v[0:1], v[2:3], off offset:8
.LBB4_666:
	s_or_b32 exec_lo, exec_lo, s12
	s_waitcnt vmcnt(0)
	global_load_dwordx2 v[2:3], v[0:1], off offset:16
	s_waitcnt vmcnt(0)
	v_cmp_eq_u64_e32 vcc_lo, 0, v[2:3]
	s_cbranch_vccnz .LBB4_668
; %bb.667:
	global_load_dword v0, v[0:1], off offset:24
	v_mov_b32_e32 v1, 0
	s_waitcnt vmcnt(0)
	v_and_b32_e32 v4, 0x7fffff, v0
	s_waitcnt_vscnt null, 0x0
	global_store_dwordx2 v[2:3], v[0:1], off
	v_readfirstlane_b32 m0, v4
	s_sendmsg sendmsg(MSG_INTERRUPT)
.LBB4_668:
	s_or_b32 exec_lo, exec_lo, s5
	s_branch .LBB4_672
	.p2align	6
.LBB4_669:                              ;   in Loop: Header=BB4_672 Depth=1
	s_or_b32 exec_lo, exec_lo, s5
	v_readfirstlane_b32 s5, v0
	s_cmp_eq_u32 s5, 0
	s_cbranch_scc1 .LBB4_671
; %bb.670:                              ;   in Loop: Header=BB4_672 Depth=1
	s_sleep 1
	s_cbranch_execnz .LBB4_672
	s_branch .LBB4_674
	.p2align	6
.LBB4_671:
	s_branch .LBB4_674
.LBB4_672:                              ; =>This Inner Loop Header: Depth=1
	v_mov_b32_e32 v0, 1
	s_and_saveexec_b32 s5, s4
	s_cbranch_execz .LBB4_669
; %bb.673:                              ;   in Loop: Header=BB4_672 Depth=1
	global_load_dword v0, v[8:9], off offset:20 glc dlc
	s_waitcnt vmcnt(0)
	buffer_gl1_inv
	buffer_gl0_inv
	v_and_b32_e32 v0, 1, v0
	s_branch .LBB4_669
.LBB4_674:
	global_load_dwordx2 v[0:1], v[10:11], off
	s_and_saveexec_b32 s5, s4
	s_cbranch_execz .LBB4_678
; %bb.675:
	v_mov_b32_e32 v8, 0
	s_clause 0x2
	global_load_dwordx2 v[4:5], v8, s[26:27] offset:40
	global_load_dwordx2 v[9:10], v8, s[26:27] offset:24 glc dlc
	global_load_dwordx2 v[6:7], v8, s[26:27]
	s_waitcnt vmcnt(2)
	v_add_co_u32 v11, vcc_lo, v4, 1
	v_add_co_ci_u32_e32 v12, vcc_lo, 0, v5, vcc_lo
	v_add_co_u32 v2, vcc_lo, v11, s8
	v_add_co_ci_u32_e32 v3, vcc_lo, s9, v12, vcc_lo
	v_cmp_eq_u64_e32 vcc_lo, 0, v[2:3]
	v_cndmask_b32_e32 v3, v3, v12, vcc_lo
	v_cndmask_b32_e32 v2, v2, v11, vcc_lo
	v_and_b32_e32 v5, v3, v5
	v_and_b32_e32 v4, v2, v4
	v_mul_lo_u32 v5, v5, 24
	v_mul_hi_u32 v11, v4, 24
	v_mul_lo_u32 v4, v4, 24
	v_add_nc_u32_e32 v5, v11, v5
	s_waitcnt vmcnt(0)
	v_add_co_u32 v6, vcc_lo, v6, v4
	v_mov_b32_e32 v4, v9
	v_add_co_ci_u32_e32 v7, vcc_lo, v7, v5, vcc_lo
	v_mov_b32_e32 v5, v10
	global_store_dwordx2 v[6:7], v[9:10], off
	s_waitcnt_vscnt null, 0x0
	global_atomic_cmpswap_x2 v[4:5], v8, v[2:5], s[26:27] offset:24 glc
	s_waitcnt vmcnt(0)
	v_cmp_ne_u64_e32 vcc_lo, v[4:5], v[9:10]
	s_and_b32 exec_lo, exec_lo, vcc_lo
	s_cbranch_execz .LBB4_678
; %bb.676:
	s_mov_b32 s4, 0
.LBB4_677:                              ; =>This Inner Loop Header: Depth=1
	s_sleep 1
	global_store_dwordx2 v[6:7], v[4:5], off
	s_waitcnt_vscnt null, 0x0
	global_atomic_cmpswap_x2 v[9:10], v8, v[2:5], s[26:27] offset:24 glc
	s_waitcnt vmcnt(0)
	v_cmp_eq_u64_e32 vcc_lo, v[9:10], v[4:5]
	v_mov_b32_e32 v4, v9
	v_mov_b32_e32 v5, v10
	s_or_b32 s4, vcc_lo, s4
	s_andn2_b32 exec_lo, exec_lo, s4
	s_cbranch_execnz .LBB4_677
.LBB4_678:
	s_or_b32 exec_lo, exec_lo, s5
	s_and_b32 vcc_lo, exec_lo, s34
	s_cbranch_vccz .LBB4_757
; %bb.679:
	s_waitcnt vmcnt(0)
	v_and_b32_e32 v31, 2, v0
	v_mov_b32_e32 v6, 0
	v_and_b32_e32 v2, -3, v0
	v_mov_b32_e32 v3, v1
	v_mov_b32_e32 v7, 2
	;; [unrolled: 1-line block ×3, first 2 shown]
	s_mov_b64 s[12:13], 3
	s_getpc_b64 s[8:9]
	s_add_u32 s8, s8, .str.6@rel32@lo+4
	s_addc_u32 s9, s9, .str.6@rel32@hi+12
	s_branch .LBB4_681
.LBB4_680:                              ;   in Loop: Header=BB4_681 Depth=1
	s_or_b32 exec_lo, exec_lo, s5
	s_sub_u32 s12, s12, s14
	s_subb_u32 s13, s13, s15
	s_add_u32 s8, s8, s14
	s_addc_u32 s9, s9, s15
	s_cmp_lg_u64 s[12:13], 0
	s_cbranch_scc0 .LBB4_756
.LBB4_681:                              ; =>This Loop Header: Depth=1
                                        ;     Child Loop BB4_690 Depth 2
                                        ;     Child Loop BB4_686 Depth 2
	;; [unrolled: 1-line block ×11, first 2 shown]
	v_cmp_lt_u64_e64 s4, s[12:13], 56
	v_cmp_gt_u64_e64 s5, s[12:13], 7
                                        ; implicit-def: $vgpr11_vgpr12
                                        ; implicit-def: $sgpr22
	s_and_b32 s4, s4, exec_lo
	s_cselect_b32 s15, s13, 0
	s_cselect_b32 s14, s12, 56
	s_and_b32 vcc_lo, exec_lo, s5
	s_mov_b32 s4, -1
	s_cbranch_vccz .LBB4_688
; %bb.682:                              ;   in Loop: Header=BB4_681 Depth=1
	s_andn2_b32 vcc_lo, exec_lo, s4
	s_mov_b64 s[4:5], s[8:9]
	s_cbranch_vccz .LBB4_692
.LBB4_683:                              ;   in Loop: Header=BB4_681 Depth=1
	s_cmp_gt_u32 s22, 7
	s_cbranch_scc1 .LBB4_693
.LBB4_684:                              ;   in Loop: Header=BB4_681 Depth=1
	v_mov_b32_e32 v13, 0
	v_mov_b32_e32 v14, 0
	s_cmp_eq_u32 s22, 0
	s_cbranch_scc1 .LBB4_687
; %bb.685:                              ;   in Loop: Header=BB4_681 Depth=1
	s_mov_b64 s[16:17], 0
	s_mov_b64 s[18:19], 0
.LBB4_686:                              ;   Parent Loop BB4_681 Depth=1
                                        ; =>  This Inner Loop Header: Depth=2
	s_add_u32 s24, s4, s18
	s_addc_u32 s25, s5, s19
	s_add_u32 s18, s18, 1
	global_load_ubyte v4, v6, s[24:25]
	s_addc_u32 s19, s19, 0
	s_waitcnt vmcnt(0)
	v_and_b32_e32 v5, 0xffff, v4
	v_lshlrev_b64 v[4:5], s16, v[5:6]
	s_add_u32 s16, s16, 8
	s_addc_u32 s17, s17, 0
	s_cmp_lg_u32 s22, s18
	v_or_b32_e32 v13, v4, v13
	v_or_b32_e32 v14, v5, v14
	s_cbranch_scc1 .LBB4_686
.LBB4_687:                              ;   in Loop: Header=BB4_681 Depth=1
	s_mov_b32 s23, 0
	s_cbranch_execz .LBB4_694
	s_branch .LBB4_695
.LBB4_688:                              ;   in Loop: Header=BB4_681 Depth=1
	v_mov_b32_e32 v11, 0
	v_mov_b32_e32 v12, 0
	s_cmp_eq_u64 s[12:13], 0
	s_mov_b64 s[4:5], 0
	s_cbranch_scc1 .LBB4_691
; %bb.689:                              ;   in Loop: Header=BB4_681 Depth=1
	v_mov_b32_e32 v11, 0
	v_mov_b32_e32 v12, 0
	s_lshl_b64 s[16:17], s[14:15], 3
	s_mov_b64 s[18:19], s[8:9]
.LBB4_690:                              ;   Parent Loop BB4_681 Depth=1
                                        ; =>  This Inner Loop Header: Depth=2
	global_load_ubyte v4, v6, s[18:19]
	s_waitcnt vmcnt(0)
	v_and_b32_e32 v5, 0xffff, v4
	v_lshlrev_b64 v[4:5], s4, v[5:6]
	s_add_u32 s4, s4, 8
	s_addc_u32 s5, s5, 0
	s_add_u32 s18, s18, 1
	s_addc_u32 s19, s19, 0
	s_cmp_lg_u32 s16, s4
	v_or_b32_e32 v11, v4, v11
	v_or_b32_e32 v12, v5, v12
	s_cbranch_scc1 .LBB4_690
.LBB4_691:                              ;   in Loop: Header=BB4_681 Depth=1
	s_mov_b32 s22, 0
	s_mov_b64 s[4:5], s[8:9]
	s_cbranch_execnz .LBB4_683
.LBB4_692:                              ;   in Loop: Header=BB4_681 Depth=1
	global_load_dwordx2 v[11:12], v6, s[8:9]
	s_add_i32 s22, s14, -8
	s_add_u32 s4, s8, 8
	s_addc_u32 s5, s9, 0
	s_cmp_gt_u32 s22, 7
	s_cbranch_scc0 .LBB4_684
.LBB4_693:                              ;   in Loop: Header=BB4_681 Depth=1
                                        ; implicit-def: $vgpr13_vgpr14
                                        ; implicit-def: $sgpr23
.LBB4_694:                              ;   in Loop: Header=BB4_681 Depth=1
	global_load_dwordx2 v[13:14], v6, s[4:5]
	s_add_i32 s23, s22, -8
	s_add_u32 s4, s4, 8
	s_addc_u32 s5, s5, 0
.LBB4_695:                              ;   in Loop: Header=BB4_681 Depth=1
	s_cmp_gt_u32 s23, 7
	s_cbranch_scc1 .LBB4_700
; %bb.696:                              ;   in Loop: Header=BB4_681 Depth=1
	v_mov_b32_e32 v15, 0
	v_mov_b32_e32 v16, 0
	s_cmp_eq_u32 s23, 0
	s_cbranch_scc1 .LBB4_699
; %bb.697:                              ;   in Loop: Header=BB4_681 Depth=1
	s_mov_b64 s[16:17], 0
	s_mov_b64 s[18:19], 0
.LBB4_698:                              ;   Parent Loop BB4_681 Depth=1
                                        ; =>  This Inner Loop Header: Depth=2
	s_add_u32 s24, s4, s18
	s_addc_u32 s25, s5, s19
	s_add_u32 s18, s18, 1
	global_load_ubyte v4, v6, s[24:25]
	s_addc_u32 s19, s19, 0
	s_waitcnt vmcnt(0)
	v_and_b32_e32 v5, 0xffff, v4
	v_lshlrev_b64 v[4:5], s16, v[5:6]
	s_add_u32 s16, s16, 8
	s_addc_u32 s17, s17, 0
	s_cmp_lg_u32 s23, s18
	v_or_b32_e32 v15, v4, v15
	v_or_b32_e32 v16, v5, v16
	s_cbranch_scc1 .LBB4_698
.LBB4_699:                              ;   in Loop: Header=BB4_681 Depth=1
	s_mov_b32 s22, 0
	s_cbranch_execz .LBB4_701
	s_branch .LBB4_702
.LBB4_700:                              ;   in Loop: Header=BB4_681 Depth=1
                                        ; implicit-def: $sgpr22
.LBB4_701:                              ;   in Loop: Header=BB4_681 Depth=1
	global_load_dwordx2 v[15:16], v6, s[4:5]
	s_add_i32 s22, s23, -8
	s_add_u32 s4, s4, 8
	s_addc_u32 s5, s5, 0
.LBB4_702:                              ;   in Loop: Header=BB4_681 Depth=1
	s_cmp_gt_u32 s22, 7
	s_cbranch_scc1 .LBB4_707
; %bb.703:                              ;   in Loop: Header=BB4_681 Depth=1
	v_mov_b32_e32 v17, 0
	v_mov_b32_e32 v18, 0
	s_cmp_eq_u32 s22, 0
	s_cbranch_scc1 .LBB4_706
; %bb.704:                              ;   in Loop: Header=BB4_681 Depth=1
	s_mov_b64 s[16:17], 0
	s_mov_b64 s[18:19], 0
.LBB4_705:                              ;   Parent Loop BB4_681 Depth=1
                                        ; =>  This Inner Loop Header: Depth=2
	s_add_u32 s24, s4, s18
	s_addc_u32 s25, s5, s19
	s_add_u32 s18, s18, 1
	global_load_ubyte v4, v6, s[24:25]
	s_addc_u32 s19, s19, 0
	s_waitcnt vmcnt(0)
	v_and_b32_e32 v5, 0xffff, v4
	v_lshlrev_b64 v[4:5], s16, v[5:6]
	s_add_u32 s16, s16, 8
	s_addc_u32 s17, s17, 0
	s_cmp_lg_u32 s22, s18
	v_or_b32_e32 v17, v4, v17
	v_or_b32_e32 v18, v5, v18
	s_cbranch_scc1 .LBB4_705
.LBB4_706:                              ;   in Loop: Header=BB4_681 Depth=1
	s_mov_b32 s23, 0
	s_cbranch_execz .LBB4_708
	s_branch .LBB4_709
.LBB4_707:                              ;   in Loop: Header=BB4_681 Depth=1
                                        ; implicit-def: $vgpr17_vgpr18
                                        ; implicit-def: $sgpr23
.LBB4_708:                              ;   in Loop: Header=BB4_681 Depth=1
	global_load_dwordx2 v[17:18], v6, s[4:5]
	s_add_i32 s23, s22, -8
	s_add_u32 s4, s4, 8
	s_addc_u32 s5, s5, 0
.LBB4_709:                              ;   in Loop: Header=BB4_681 Depth=1
	s_cmp_gt_u32 s23, 7
	s_cbranch_scc1 .LBB4_714
; %bb.710:                              ;   in Loop: Header=BB4_681 Depth=1
	v_mov_b32_e32 v19, 0
	v_mov_b32_e32 v20, 0
	s_cmp_eq_u32 s23, 0
	s_cbranch_scc1 .LBB4_713
; %bb.711:                              ;   in Loop: Header=BB4_681 Depth=1
	s_mov_b64 s[16:17], 0
	s_mov_b64 s[18:19], 0
.LBB4_712:                              ;   Parent Loop BB4_681 Depth=1
                                        ; =>  This Inner Loop Header: Depth=2
	s_add_u32 s24, s4, s18
	s_addc_u32 s25, s5, s19
	s_add_u32 s18, s18, 1
	global_load_ubyte v4, v6, s[24:25]
	s_addc_u32 s19, s19, 0
	s_waitcnt vmcnt(0)
	v_and_b32_e32 v5, 0xffff, v4
	v_lshlrev_b64 v[4:5], s16, v[5:6]
	s_add_u32 s16, s16, 8
	s_addc_u32 s17, s17, 0
	s_cmp_lg_u32 s23, s18
	v_or_b32_e32 v19, v4, v19
	v_or_b32_e32 v20, v5, v20
	s_cbranch_scc1 .LBB4_712
.LBB4_713:                              ;   in Loop: Header=BB4_681 Depth=1
	s_mov_b32 s22, 0
	s_cbranch_execz .LBB4_715
	s_branch .LBB4_716
.LBB4_714:                              ;   in Loop: Header=BB4_681 Depth=1
                                        ; implicit-def: $sgpr22
.LBB4_715:                              ;   in Loop: Header=BB4_681 Depth=1
	global_load_dwordx2 v[19:20], v6, s[4:5]
	s_add_i32 s22, s23, -8
	s_add_u32 s4, s4, 8
	s_addc_u32 s5, s5, 0
.LBB4_716:                              ;   in Loop: Header=BB4_681 Depth=1
	s_cmp_gt_u32 s22, 7
	s_cbranch_scc1 .LBB4_721
; %bb.717:                              ;   in Loop: Header=BB4_681 Depth=1
	v_mov_b32_e32 v21, 0
	v_mov_b32_e32 v22, 0
	s_cmp_eq_u32 s22, 0
	s_cbranch_scc1 .LBB4_720
; %bb.718:                              ;   in Loop: Header=BB4_681 Depth=1
	s_mov_b64 s[16:17], 0
	s_mov_b64 s[18:19], 0
.LBB4_719:                              ;   Parent Loop BB4_681 Depth=1
                                        ; =>  This Inner Loop Header: Depth=2
	s_add_u32 s24, s4, s18
	s_addc_u32 s25, s5, s19
	s_add_u32 s18, s18, 1
	global_load_ubyte v4, v6, s[24:25]
	s_addc_u32 s19, s19, 0
	s_waitcnt vmcnt(0)
	v_and_b32_e32 v5, 0xffff, v4
	v_lshlrev_b64 v[4:5], s16, v[5:6]
	s_add_u32 s16, s16, 8
	s_addc_u32 s17, s17, 0
	s_cmp_lg_u32 s22, s18
	v_or_b32_e32 v21, v4, v21
	v_or_b32_e32 v22, v5, v22
	s_cbranch_scc1 .LBB4_719
.LBB4_720:                              ;   in Loop: Header=BB4_681 Depth=1
	s_mov_b32 s23, 0
	s_cbranch_execz .LBB4_722
	s_branch .LBB4_723
.LBB4_721:                              ;   in Loop: Header=BB4_681 Depth=1
                                        ; implicit-def: $vgpr21_vgpr22
                                        ; implicit-def: $sgpr23
.LBB4_722:                              ;   in Loop: Header=BB4_681 Depth=1
	global_load_dwordx2 v[21:22], v6, s[4:5]
	s_add_i32 s23, s22, -8
	s_add_u32 s4, s4, 8
	s_addc_u32 s5, s5, 0
.LBB4_723:                              ;   in Loop: Header=BB4_681 Depth=1
	s_cmp_gt_u32 s23, 7
	s_cbranch_scc1 .LBB4_728
; %bb.724:                              ;   in Loop: Header=BB4_681 Depth=1
	v_mov_b32_e32 v23, 0
	v_mov_b32_e32 v24, 0
	s_cmp_eq_u32 s23, 0
	s_cbranch_scc1 .LBB4_727
; %bb.725:                              ;   in Loop: Header=BB4_681 Depth=1
	s_mov_b64 s[16:17], 0
	s_mov_b64 s[18:19], s[4:5]
.LBB4_726:                              ;   Parent Loop BB4_681 Depth=1
                                        ; =>  This Inner Loop Header: Depth=2
	global_load_ubyte v4, v6, s[18:19]
	s_add_i32 s23, s23, -1
	s_waitcnt vmcnt(0)
	v_and_b32_e32 v5, 0xffff, v4
	v_lshlrev_b64 v[4:5], s16, v[5:6]
	s_add_u32 s16, s16, 8
	s_addc_u32 s17, s17, 0
	s_add_u32 s18, s18, 1
	s_addc_u32 s19, s19, 0
	s_cmp_lg_u32 s23, 0
	v_or_b32_e32 v23, v4, v23
	v_or_b32_e32 v24, v5, v24
	s_cbranch_scc1 .LBB4_726
.LBB4_727:                              ;   in Loop: Header=BB4_681 Depth=1
	s_cbranch_execz .LBB4_729
	s_branch .LBB4_730
.LBB4_728:                              ;   in Loop: Header=BB4_681 Depth=1
.LBB4_729:                              ;   in Loop: Header=BB4_681 Depth=1
	global_load_dwordx2 v[23:24], v6, s[4:5]
.LBB4_730:                              ;   in Loop: Header=BB4_681 Depth=1
	v_readfirstlane_b32 s4, v37
	s_waitcnt vmcnt(0)
	v_mov_b32_e32 v4, 0
	v_mov_b32_e32 v5, 0
	v_cmp_eq_u32_e64 s4, s4, v37
	s_and_saveexec_b32 s5, s4
	s_cbranch_execz .LBB4_736
; %bb.731:                              ;   in Loop: Header=BB4_681 Depth=1
	global_load_dwordx2 v[27:28], v6, s[26:27] offset:24 glc dlc
	s_waitcnt vmcnt(0)
	buffer_gl1_inv
	buffer_gl0_inv
	s_clause 0x1
	global_load_dwordx2 v[4:5], v6, s[26:27] offset:40
	global_load_dwordx2 v[9:10], v6, s[26:27]
	s_mov_b32 s16, exec_lo
	s_waitcnt vmcnt(1)
	v_and_b32_e32 v5, v5, v28
	v_and_b32_e32 v4, v4, v27
	v_mul_lo_u32 v5, v5, 24
	v_mul_hi_u32 v25, v4, 24
	v_mul_lo_u32 v4, v4, 24
	v_add_nc_u32_e32 v5, v25, v5
	s_waitcnt vmcnt(0)
	v_add_co_u32 v4, vcc_lo, v9, v4
	v_add_co_ci_u32_e32 v5, vcc_lo, v10, v5, vcc_lo
	global_load_dwordx2 v[25:26], v[4:5], off glc dlc
	s_waitcnt vmcnt(0)
	global_atomic_cmpswap_x2 v[4:5], v6, v[25:28], s[26:27] offset:24 glc
	s_waitcnt vmcnt(0)
	buffer_gl1_inv
	buffer_gl0_inv
	v_cmpx_ne_u64_e64 v[4:5], v[27:28]
	s_cbranch_execz .LBB4_735
; %bb.732:                              ;   in Loop: Header=BB4_681 Depth=1
	s_mov_b32 s17, 0
	.p2align	6
.LBB4_733:                              ;   Parent Loop BB4_681 Depth=1
                                        ; =>  This Inner Loop Header: Depth=2
	s_sleep 1
	s_clause 0x1
	global_load_dwordx2 v[9:10], v6, s[26:27] offset:40
	global_load_dwordx2 v[25:26], v6, s[26:27]
	v_mov_b32_e32 v28, v5
	v_mov_b32_e32 v27, v4
	s_waitcnt vmcnt(1)
	v_and_b32_e32 v4, v9, v27
	v_and_b32_e32 v9, v10, v28
	s_waitcnt vmcnt(0)
	v_mad_u64_u32 v[4:5], null, v4, 24, v[25:26]
	v_mad_u64_u32 v[9:10], null, v9, 24, v[5:6]
	v_mov_b32_e32 v5, v9
	global_load_dwordx2 v[25:26], v[4:5], off glc dlc
	s_waitcnt vmcnt(0)
	global_atomic_cmpswap_x2 v[4:5], v6, v[25:28], s[26:27] offset:24 glc
	s_waitcnt vmcnt(0)
	buffer_gl1_inv
	buffer_gl0_inv
	v_cmp_eq_u64_e32 vcc_lo, v[4:5], v[27:28]
	s_or_b32 s17, vcc_lo, s17
	s_andn2_b32 exec_lo, exec_lo, s17
	s_cbranch_execnz .LBB4_733
; %bb.734:                              ;   in Loop: Header=BB4_681 Depth=1
	s_or_b32 exec_lo, exec_lo, s17
.LBB4_735:                              ;   in Loop: Header=BB4_681 Depth=1
	s_or_b32 exec_lo, exec_lo, s16
.LBB4_736:                              ;   in Loop: Header=BB4_681 Depth=1
	s_or_b32 exec_lo, exec_lo, s5
	s_clause 0x1
	global_load_dwordx2 v[9:10], v6, s[26:27] offset:40
	global_load_dwordx4 v[25:28], v6, s[26:27]
	v_readfirstlane_b32 s16, v4
	v_readfirstlane_b32 s17, v5
	s_mov_b32 s5, exec_lo
	s_waitcnt vmcnt(1)
	v_readfirstlane_b32 s18, v9
	v_readfirstlane_b32 s19, v10
	s_and_b64 s[18:19], s[16:17], s[18:19]
	s_mul_i32 s22, s19, 24
	s_mul_hi_u32 s23, s18, 24
	s_mul_i32 s24, s18, 24
	s_add_i32 s23, s23, s22
	s_waitcnt vmcnt(0)
	v_add_co_u32 v29, vcc_lo, v25, s24
	v_add_co_ci_u32_e32 v30, vcc_lo, s23, v26, vcc_lo
	s_and_saveexec_b32 s22, s4
	s_cbranch_execz .LBB4_738
; %bb.737:                              ;   in Loop: Header=BB4_681 Depth=1
	v_mov_b32_e32 v5, s5
	global_store_dwordx4 v[29:30], v[5:8], off offset:8
.LBB4_738:                              ;   in Loop: Header=BB4_681 Depth=1
	s_or_b32 exec_lo, exec_lo, s22
	s_lshl_b64 s[18:19], s[18:19], 12
	v_cmp_gt_u64_e64 vcc_lo, s[12:13], 56
	v_or_b32_e32 v5, v2, v31
	v_add_co_u32 v27, s5, v27, s18
	v_add_co_ci_u32_e64 v28, s5, s19, v28, s5
	s_lshl_b32 s5, s14, 2
	v_or_b32_e32 v4, 0, v3
	v_cndmask_b32_e32 v2, v5, v2, vcc_lo
	s_add_i32 s5, s5, 28
	v_readfirstlane_b32 s18, v27
	s_and_b32 s5, s5, 0x1e0
	v_cndmask_b32_e32 v10, v4, v3, vcc_lo
	v_readfirstlane_b32 s19, v28
	v_and_or_b32 v9, 0xffffff1f, v2, s5
	global_store_dwordx4 v36, v[9:12], s[18:19]
	global_store_dwordx4 v36, v[13:16], s[18:19] offset:16
	global_store_dwordx4 v36, v[17:20], s[18:19] offset:32
	;; [unrolled: 1-line block ×3, first 2 shown]
	s_and_saveexec_b32 s5, s4
	s_cbranch_execz .LBB4_746
; %bb.739:                              ;   in Loop: Header=BB4_681 Depth=1
	s_clause 0x1
	global_load_dwordx2 v[13:14], v6, s[26:27] offset:32 glc dlc
	global_load_dwordx2 v[2:3], v6, s[26:27] offset:40
	v_mov_b32_e32 v11, s16
	v_mov_b32_e32 v12, s17
	s_waitcnt vmcnt(0)
	v_readfirstlane_b32 s18, v2
	v_readfirstlane_b32 s19, v3
	s_and_b64 s[18:19], s[18:19], s[16:17]
	s_mul_i32 s19, s19, 24
	s_mul_hi_u32 s22, s18, 24
	s_mul_i32 s18, s18, 24
	s_add_i32 s22, s22, s19
	v_add_co_u32 v9, vcc_lo, v25, s18
	v_add_co_ci_u32_e32 v10, vcc_lo, s22, v26, vcc_lo
	s_mov_b32 s18, exec_lo
	global_store_dwordx2 v[9:10], v[13:14], off
	s_waitcnt_vscnt null, 0x0
	global_atomic_cmpswap_x2 v[4:5], v6, v[11:14], s[26:27] offset:32 glc
	s_waitcnt vmcnt(0)
	v_cmpx_ne_u64_e64 v[4:5], v[13:14]
	s_cbranch_execz .LBB4_742
; %bb.740:                              ;   in Loop: Header=BB4_681 Depth=1
	s_mov_b32 s19, 0
.LBB4_741:                              ;   Parent Loop BB4_681 Depth=1
                                        ; =>  This Inner Loop Header: Depth=2
	v_mov_b32_e32 v2, s16
	v_mov_b32_e32 v3, s17
	s_sleep 1
	global_store_dwordx2 v[9:10], v[4:5], off
	s_waitcnt_vscnt null, 0x0
	global_atomic_cmpswap_x2 v[2:3], v6, v[2:5], s[26:27] offset:32 glc
	s_waitcnt vmcnt(0)
	v_cmp_eq_u64_e32 vcc_lo, v[2:3], v[4:5]
	v_mov_b32_e32 v5, v3
	v_mov_b32_e32 v4, v2
	s_or_b32 s19, vcc_lo, s19
	s_andn2_b32 exec_lo, exec_lo, s19
	s_cbranch_execnz .LBB4_741
.LBB4_742:                              ;   in Loop: Header=BB4_681 Depth=1
	s_or_b32 exec_lo, exec_lo, s18
	global_load_dwordx2 v[2:3], v6, s[26:27] offset:16
	s_mov_b32 s19, exec_lo
	s_mov_b32 s18, exec_lo
	v_mbcnt_lo_u32_b32 v4, s19, 0
	v_cmpx_eq_u32_e32 0, v4
	s_cbranch_execz .LBB4_744
; %bb.743:                              ;   in Loop: Header=BB4_681 Depth=1
	s_bcnt1_i32_b32 s19, s19
	v_mov_b32_e32 v5, s19
	s_waitcnt vmcnt(0)
	global_atomic_add_x2 v[2:3], v[5:6], off offset:8
.LBB4_744:                              ;   in Loop: Header=BB4_681 Depth=1
	s_or_b32 exec_lo, exec_lo, s18
	s_waitcnt vmcnt(0)
	global_load_dwordx2 v[9:10], v[2:3], off offset:16
	s_waitcnt vmcnt(0)
	v_cmp_eq_u64_e32 vcc_lo, 0, v[9:10]
	s_cbranch_vccnz .LBB4_746
; %bb.745:                              ;   in Loop: Header=BB4_681 Depth=1
	global_load_dword v5, v[2:3], off offset:24
	s_waitcnt vmcnt(0)
	v_and_b32_e32 v2, 0x7fffff, v5
	s_waitcnt_vscnt null, 0x0
	global_store_dwordx2 v[9:10], v[5:6], off
	v_readfirstlane_b32 m0, v2
	s_sendmsg sendmsg(MSG_INTERRUPT)
.LBB4_746:                              ;   in Loop: Header=BB4_681 Depth=1
	s_or_b32 exec_lo, exec_lo, s5
	v_add_co_u32 v2, vcc_lo, v27, v36
	v_add_co_ci_u32_e32 v3, vcc_lo, 0, v28, vcc_lo
	s_branch .LBB4_750
	.p2align	6
.LBB4_747:                              ;   in Loop: Header=BB4_750 Depth=2
	s_or_b32 exec_lo, exec_lo, s5
	v_readfirstlane_b32 s5, v4
	s_cmp_eq_u32 s5, 0
	s_cbranch_scc1 .LBB4_749
; %bb.748:                              ;   in Loop: Header=BB4_750 Depth=2
	s_sleep 1
	s_cbranch_execnz .LBB4_750
	s_branch .LBB4_752
	.p2align	6
.LBB4_749:                              ;   in Loop: Header=BB4_681 Depth=1
	s_branch .LBB4_752
.LBB4_750:                              ;   Parent Loop BB4_681 Depth=1
                                        ; =>  This Inner Loop Header: Depth=2
	v_mov_b32_e32 v4, 1
	s_and_saveexec_b32 s5, s4
	s_cbranch_execz .LBB4_747
; %bb.751:                              ;   in Loop: Header=BB4_750 Depth=2
	global_load_dword v4, v[29:30], off offset:20 glc dlc
	s_waitcnt vmcnt(0)
	buffer_gl1_inv
	buffer_gl0_inv
	v_and_b32_e32 v4, 1, v4
	s_branch .LBB4_747
.LBB4_752:                              ;   in Loop: Header=BB4_681 Depth=1
	global_load_dwordx4 v[2:5], v[2:3], off
	s_and_saveexec_b32 s5, s4
	s_cbranch_execz .LBB4_680
; %bb.753:                              ;   in Loop: Header=BB4_681 Depth=1
	s_clause 0x2
	global_load_dwordx2 v[4:5], v6, s[26:27] offset:40
	global_load_dwordx2 v[13:14], v6, s[26:27] offset:24 glc dlc
	global_load_dwordx2 v[11:12], v6, s[26:27]
	s_waitcnt vmcnt(2)
	v_add_co_u32 v15, vcc_lo, v4, 1
	v_add_co_ci_u32_e32 v16, vcc_lo, 0, v5, vcc_lo
	v_add_co_u32 v9, vcc_lo, v15, s16
	v_add_co_ci_u32_e32 v10, vcc_lo, s17, v16, vcc_lo
	v_cmp_eq_u64_e32 vcc_lo, 0, v[9:10]
	v_cndmask_b32_e32 v10, v10, v16, vcc_lo
	v_cndmask_b32_e32 v9, v9, v15, vcc_lo
	v_and_b32_e32 v5, v10, v5
	v_and_b32_e32 v4, v9, v4
	v_mul_lo_u32 v5, v5, 24
	v_mul_hi_u32 v15, v4, 24
	v_mul_lo_u32 v4, v4, 24
	v_add_nc_u32_e32 v5, v15, v5
	s_waitcnt vmcnt(0)
	v_add_co_u32 v4, vcc_lo, v11, v4
	v_mov_b32_e32 v11, v13
	v_add_co_ci_u32_e32 v5, vcc_lo, v12, v5, vcc_lo
	v_mov_b32_e32 v12, v14
	global_store_dwordx2 v[4:5], v[13:14], off
	s_waitcnt_vscnt null, 0x0
	global_atomic_cmpswap_x2 v[11:12], v6, v[9:12], s[26:27] offset:24 glc
	s_waitcnt vmcnt(0)
	v_cmp_ne_u64_e32 vcc_lo, v[11:12], v[13:14]
	s_and_b32 exec_lo, exec_lo, vcc_lo
	s_cbranch_execz .LBB4_680
; %bb.754:                              ;   in Loop: Header=BB4_681 Depth=1
	s_mov_b32 s4, 0
.LBB4_755:                              ;   Parent Loop BB4_681 Depth=1
                                        ; =>  This Inner Loop Header: Depth=2
	s_sleep 1
	global_store_dwordx2 v[4:5], v[11:12], off
	s_waitcnt_vscnt null, 0x0
	global_atomic_cmpswap_x2 v[13:14], v6, v[9:12], s[26:27] offset:24 glc
	s_waitcnt vmcnt(0)
	v_cmp_eq_u64_e32 vcc_lo, v[13:14], v[11:12]
	v_mov_b32_e32 v11, v13
	v_mov_b32_e32 v12, v14
	s_or_b32 s4, vcc_lo, s4
	s_andn2_b32 exec_lo, exec_lo, s4
	s_cbranch_execnz .LBB4_755
	s_branch .LBB4_680
.LBB4_756:
	s_branch .LBB4_785
.LBB4_757:
                                        ; implicit-def: $vgpr2_vgpr3
	s_cbranch_execz .LBB4_785
; %bb.758:
	v_readfirstlane_b32 s4, v37
	v_mov_b32_e32 v8, 0
	v_mov_b32_e32 v9, 0
	v_cmp_eq_u32_e64 s4, s4, v37
	s_and_saveexec_b32 s5, s4
	s_cbranch_execz .LBB4_764
; %bb.759:
	s_waitcnt vmcnt(0)
	v_mov_b32_e32 v2, 0
	s_mov_b32 s8, exec_lo
	global_load_dwordx2 v[5:6], v2, s[26:27] offset:24 glc dlc
	s_waitcnt vmcnt(0)
	buffer_gl1_inv
	buffer_gl0_inv
	s_clause 0x1
	global_load_dwordx2 v[3:4], v2, s[26:27] offset:40
	global_load_dwordx2 v[7:8], v2, s[26:27]
	s_waitcnt vmcnt(1)
	v_and_b32_e32 v4, v4, v6
	v_and_b32_e32 v3, v3, v5
	v_mul_lo_u32 v4, v4, 24
	v_mul_hi_u32 v9, v3, 24
	v_mul_lo_u32 v3, v3, 24
	v_add_nc_u32_e32 v4, v9, v4
	s_waitcnt vmcnt(0)
	v_add_co_u32 v3, vcc_lo, v7, v3
	v_add_co_ci_u32_e32 v4, vcc_lo, v8, v4, vcc_lo
	global_load_dwordx2 v[3:4], v[3:4], off glc dlc
	s_waitcnt vmcnt(0)
	global_atomic_cmpswap_x2 v[8:9], v2, v[3:6], s[26:27] offset:24 glc
	s_waitcnt vmcnt(0)
	buffer_gl1_inv
	buffer_gl0_inv
	v_cmpx_ne_u64_e64 v[8:9], v[5:6]
	s_cbranch_execz .LBB4_763
; %bb.760:
	s_mov_b32 s9, 0
.LBB4_761:                              ; =>This Inner Loop Header: Depth=1
	s_sleep 1
	s_clause 0x1
	global_load_dwordx2 v[3:4], v2, s[26:27] offset:40
	global_load_dwordx2 v[10:11], v2, s[26:27]
	v_mov_b32_e32 v5, v8
	v_mov_b32_e32 v6, v9
	s_waitcnt vmcnt(1)
	v_and_b32_e32 v3, v3, v5
	v_and_b32_e32 v4, v4, v6
	s_waitcnt vmcnt(0)
	v_mad_u64_u32 v[7:8], null, v3, 24, v[10:11]
	v_mov_b32_e32 v3, v8
	v_mad_u64_u32 v[3:4], null, v4, 24, v[3:4]
	v_mov_b32_e32 v8, v3
	global_load_dwordx2 v[3:4], v[7:8], off glc dlc
	s_waitcnt vmcnt(0)
	global_atomic_cmpswap_x2 v[8:9], v2, v[3:6], s[26:27] offset:24 glc
	s_waitcnt vmcnt(0)
	buffer_gl1_inv
	buffer_gl0_inv
	v_cmp_eq_u64_e32 vcc_lo, v[8:9], v[5:6]
	s_or_b32 s9, vcc_lo, s9
	s_andn2_b32 exec_lo, exec_lo, s9
	s_cbranch_execnz .LBB4_761
; %bb.762:
	s_or_b32 exec_lo, exec_lo, s9
.LBB4_763:
	s_or_b32 exec_lo, exec_lo, s8
.LBB4_764:
	s_or_b32 exec_lo, exec_lo, s5
	s_waitcnt vmcnt(0)
	v_mov_b32_e32 v2, 0
	v_readfirstlane_b32 s8, v8
	v_readfirstlane_b32 s9, v9
	s_mov_b32 s5, exec_lo
	s_clause 0x1
	global_load_dwordx2 v[10:11], v2, s[26:27] offset:40
	global_load_dwordx4 v[4:7], v2, s[26:27]
	s_waitcnt vmcnt(1)
	v_readfirstlane_b32 s12, v10
	v_readfirstlane_b32 s13, v11
	s_and_b64 s[12:13], s[8:9], s[12:13]
	s_mul_i32 s14, s13, 24
	s_mul_hi_u32 s15, s12, 24
	s_mul_i32 s16, s12, 24
	s_add_i32 s15, s15, s14
	s_waitcnt vmcnt(0)
	v_add_co_u32 v8, vcc_lo, v4, s16
	v_add_co_ci_u32_e32 v9, vcc_lo, s15, v5, vcc_lo
	s_and_saveexec_b32 s14, s4
	s_cbranch_execz .LBB4_766
; %bb.765:
	v_mov_b32_e32 v10, s5
	v_mov_b32_e32 v11, v2
	;; [unrolled: 1-line block ×4, first 2 shown]
	global_store_dwordx4 v[8:9], v[10:13], off offset:8
.LBB4_766:
	s_or_b32 exec_lo, exec_lo, s14
	s_lshl_b64 s[12:13], s[12:13], 12
	v_and_or_b32 v0, 0xffffff1f, v0, 32
	v_add_co_u32 v6, vcc_lo, v6, s12
	v_add_co_ci_u32_e32 v7, vcc_lo, s13, v7, vcc_lo
	s_mov_b32 s12, 0
	v_readfirstlane_b32 s16, v6
	v_add_co_u32 v6, vcc_lo, v6, v36
	s_mov_b32 s13, s12
	s_mov_b32 s14, s12
	;; [unrolled: 1-line block ×3, first 2 shown]
	v_mov_b32_e32 v3, v2
	v_readfirstlane_b32 s17, v7
	v_mov_b32_e32 v10, s12
	v_add_co_ci_u32_e32 v7, vcc_lo, 0, v7, vcc_lo
	v_mov_b32_e32 v11, s13
	v_mov_b32_e32 v12, s14
	v_mov_b32_e32 v13, s15
	global_store_dwordx4 v36, v[0:3], s[16:17]
	global_store_dwordx4 v36, v[10:13], s[16:17] offset:16
	global_store_dwordx4 v36, v[10:13], s[16:17] offset:32
	;; [unrolled: 1-line block ×3, first 2 shown]
	s_and_saveexec_b32 s5, s4
	s_cbranch_execz .LBB4_774
; %bb.767:
	v_mov_b32_e32 v10, 0
	v_mov_b32_e32 v11, s8
	;; [unrolled: 1-line block ×3, first 2 shown]
	s_clause 0x1
	global_load_dwordx2 v[13:14], v10, s[26:27] offset:32 glc dlc
	global_load_dwordx2 v[0:1], v10, s[26:27] offset:40
	s_waitcnt vmcnt(0)
	v_readfirstlane_b32 s12, v0
	v_readfirstlane_b32 s13, v1
	s_and_b64 s[12:13], s[12:13], s[8:9]
	s_mul_i32 s13, s13, 24
	s_mul_hi_u32 s14, s12, 24
	s_mul_i32 s12, s12, 24
	s_add_i32 s14, s14, s13
	v_add_co_u32 v4, vcc_lo, v4, s12
	v_add_co_ci_u32_e32 v5, vcc_lo, s14, v5, vcc_lo
	s_mov_b32 s12, exec_lo
	global_store_dwordx2 v[4:5], v[13:14], off
	s_waitcnt_vscnt null, 0x0
	global_atomic_cmpswap_x2 v[2:3], v10, v[11:14], s[26:27] offset:32 glc
	s_waitcnt vmcnt(0)
	v_cmpx_ne_u64_e64 v[2:3], v[13:14]
	s_cbranch_execz .LBB4_770
; %bb.768:
	s_mov_b32 s13, 0
.LBB4_769:                              ; =>This Inner Loop Header: Depth=1
	v_mov_b32_e32 v0, s8
	v_mov_b32_e32 v1, s9
	s_sleep 1
	global_store_dwordx2 v[4:5], v[2:3], off
	s_waitcnt_vscnt null, 0x0
	global_atomic_cmpswap_x2 v[0:1], v10, v[0:3], s[26:27] offset:32 glc
	s_waitcnt vmcnt(0)
	v_cmp_eq_u64_e32 vcc_lo, v[0:1], v[2:3]
	v_mov_b32_e32 v3, v1
	v_mov_b32_e32 v2, v0
	s_or_b32 s13, vcc_lo, s13
	s_andn2_b32 exec_lo, exec_lo, s13
	s_cbranch_execnz .LBB4_769
.LBB4_770:
	s_or_b32 exec_lo, exec_lo, s12
	v_mov_b32_e32 v3, 0
	s_mov_b32 s13, exec_lo
	s_mov_b32 s12, exec_lo
	v_mbcnt_lo_u32_b32 v2, s13, 0
	global_load_dwordx2 v[0:1], v3, s[26:27] offset:16
	v_cmpx_eq_u32_e32 0, v2
	s_cbranch_execz .LBB4_772
; %bb.771:
	s_bcnt1_i32_b32 s13, s13
	v_mov_b32_e32 v2, s13
	s_waitcnt vmcnt(0)
	global_atomic_add_x2 v[0:1], v[2:3], off offset:8
.LBB4_772:
	s_or_b32 exec_lo, exec_lo, s12
	s_waitcnt vmcnt(0)
	global_load_dwordx2 v[2:3], v[0:1], off offset:16
	s_waitcnt vmcnt(0)
	v_cmp_eq_u64_e32 vcc_lo, 0, v[2:3]
	s_cbranch_vccnz .LBB4_774
; %bb.773:
	global_load_dword v0, v[0:1], off offset:24
	v_mov_b32_e32 v1, 0
	s_waitcnt vmcnt(0)
	v_and_b32_e32 v4, 0x7fffff, v0
	s_waitcnt_vscnt null, 0x0
	global_store_dwordx2 v[2:3], v[0:1], off
	v_readfirstlane_b32 m0, v4
	s_sendmsg sendmsg(MSG_INTERRUPT)
.LBB4_774:
	s_or_b32 exec_lo, exec_lo, s5
	s_branch .LBB4_778
	.p2align	6
.LBB4_775:                              ;   in Loop: Header=BB4_778 Depth=1
	s_or_b32 exec_lo, exec_lo, s5
	v_readfirstlane_b32 s5, v0
	s_cmp_eq_u32 s5, 0
	s_cbranch_scc1 .LBB4_777
; %bb.776:                              ;   in Loop: Header=BB4_778 Depth=1
	s_sleep 1
	s_cbranch_execnz .LBB4_778
	s_branch .LBB4_780
	.p2align	6
.LBB4_777:
	s_branch .LBB4_780
.LBB4_778:                              ; =>This Inner Loop Header: Depth=1
	v_mov_b32_e32 v0, 1
	s_and_saveexec_b32 s5, s4
	s_cbranch_execz .LBB4_775
; %bb.779:                              ;   in Loop: Header=BB4_778 Depth=1
	global_load_dword v0, v[8:9], off offset:20 glc dlc
	s_waitcnt vmcnt(0)
	buffer_gl1_inv
	buffer_gl0_inv
	v_and_b32_e32 v0, 1, v0
	s_branch .LBB4_775
.LBB4_780:
	global_load_dwordx2 v[2:3], v[6:7], off
	s_and_saveexec_b32 s5, s4
	s_cbranch_execz .LBB4_784
; %bb.781:
	v_mov_b32_e32 v8, 0
	s_clause 0x2
	global_load_dwordx2 v[0:1], v8, s[26:27] offset:40
	global_load_dwordx2 v[9:10], v8, s[26:27] offset:24 glc dlc
	global_load_dwordx2 v[6:7], v8, s[26:27]
	s_waitcnt vmcnt(2)
	v_add_co_u32 v11, vcc_lo, v0, 1
	v_add_co_ci_u32_e32 v12, vcc_lo, 0, v1, vcc_lo
	v_add_co_u32 v4, vcc_lo, v11, s8
	v_add_co_ci_u32_e32 v5, vcc_lo, s9, v12, vcc_lo
	v_cmp_eq_u64_e32 vcc_lo, 0, v[4:5]
	v_cndmask_b32_e32 v5, v5, v12, vcc_lo
	v_cndmask_b32_e32 v4, v4, v11, vcc_lo
	v_and_b32_e32 v1, v5, v1
	v_and_b32_e32 v0, v4, v0
	v_mul_lo_u32 v1, v1, 24
	v_mul_hi_u32 v11, v0, 24
	v_mul_lo_u32 v0, v0, 24
	v_add_nc_u32_e32 v1, v11, v1
	s_waitcnt vmcnt(0)
	v_add_co_u32 v0, vcc_lo, v6, v0
	v_mov_b32_e32 v6, v9
	v_add_co_ci_u32_e32 v1, vcc_lo, v7, v1, vcc_lo
	v_mov_b32_e32 v7, v10
	global_store_dwordx2 v[0:1], v[9:10], off
	s_waitcnt_vscnt null, 0x0
	global_atomic_cmpswap_x2 v[6:7], v8, v[4:7], s[26:27] offset:24 glc
	s_waitcnt vmcnt(0)
	v_cmp_ne_u64_e32 vcc_lo, v[6:7], v[9:10]
	s_and_b32 exec_lo, exec_lo, vcc_lo
	s_cbranch_execz .LBB4_784
; %bb.782:
	s_mov_b32 s4, 0
.LBB4_783:                              ; =>This Inner Loop Header: Depth=1
	s_sleep 1
	global_store_dwordx2 v[0:1], v[6:7], off
	s_waitcnt_vscnt null, 0x0
	global_atomic_cmpswap_x2 v[9:10], v8, v[4:7], s[26:27] offset:24 glc
	s_waitcnt vmcnt(0)
	v_cmp_eq_u64_e32 vcc_lo, v[9:10], v[6:7]
	v_mov_b32_e32 v6, v9
	v_mov_b32_e32 v7, v10
	s_or_b32 s4, vcc_lo, s4
	s_andn2_b32 exec_lo, exec_lo, s4
	s_cbranch_execnz .LBB4_783
.LBB4_784:
	s_or_b32 exec_lo, exec_lo, s5
.LBB4_785:
	v_readfirstlane_b32 s4, v37
	s_waitcnt vmcnt(0)
	v_mov_b32_e32 v0, 0
	v_mov_b32_e32 v1, 0
	v_cmp_eq_u32_e64 s4, s4, v37
	s_and_saveexec_b32 s5, s4
	s_cbranch_execz .LBB4_791
; %bb.786:
	v_mov_b32_e32 v4, 0
	s_mov_b32 s8, exec_lo
	global_load_dwordx2 v[7:8], v4, s[26:27] offset:24 glc dlc
	s_waitcnt vmcnt(0)
	buffer_gl1_inv
	buffer_gl0_inv
	s_clause 0x1
	global_load_dwordx2 v[0:1], v4, s[26:27] offset:40
	global_load_dwordx2 v[5:6], v4, s[26:27]
	s_waitcnt vmcnt(1)
	v_and_b32_e32 v1, v1, v8
	v_and_b32_e32 v0, v0, v7
	v_mul_lo_u32 v1, v1, 24
	v_mul_hi_u32 v9, v0, 24
	v_mul_lo_u32 v0, v0, 24
	v_add_nc_u32_e32 v1, v9, v1
	s_waitcnt vmcnt(0)
	v_add_co_u32 v0, vcc_lo, v5, v0
	v_add_co_ci_u32_e32 v1, vcc_lo, v6, v1, vcc_lo
	global_load_dwordx2 v[5:6], v[0:1], off glc dlc
	s_waitcnt vmcnt(0)
	global_atomic_cmpswap_x2 v[0:1], v4, v[5:8], s[26:27] offset:24 glc
	s_waitcnt vmcnt(0)
	buffer_gl1_inv
	buffer_gl0_inv
	v_cmpx_ne_u64_e64 v[0:1], v[7:8]
	s_cbranch_execz .LBB4_790
; %bb.787:
	s_mov_b32 s9, 0
	.p2align	6
.LBB4_788:                              ; =>This Inner Loop Header: Depth=1
	s_sleep 1
	s_clause 0x1
	global_load_dwordx2 v[5:6], v4, s[26:27] offset:40
	global_load_dwordx2 v[9:10], v4, s[26:27]
	v_mov_b32_e32 v8, v1
	v_mov_b32_e32 v7, v0
	s_waitcnt vmcnt(1)
	v_and_b32_e32 v0, v5, v7
	v_and_b32_e32 v5, v6, v8
	s_waitcnt vmcnt(0)
	v_mad_u64_u32 v[0:1], null, v0, 24, v[9:10]
	v_mad_u64_u32 v[5:6], null, v5, 24, v[1:2]
	v_mov_b32_e32 v1, v5
	global_load_dwordx2 v[5:6], v[0:1], off glc dlc
	s_waitcnt vmcnt(0)
	global_atomic_cmpswap_x2 v[0:1], v4, v[5:8], s[26:27] offset:24 glc
	s_waitcnt vmcnt(0)
	buffer_gl1_inv
	buffer_gl0_inv
	v_cmp_eq_u64_e32 vcc_lo, v[0:1], v[7:8]
	s_or_b32 s9, vcc_lo, s9
	s_andn2_b32 exec_lo, exec_lo, s9
	s_cbranch_execnz .LBB4_788
; %bb.789:
	s_or_b32 exec_lo, exec_lo, s9
.LBB4_790:
	s_or_b32 exec_lo, exec_lo, s8
.LBB4_791:
	s_or_b32 exec_lo, exec_lo, s5
	v_mov_b32_e32 v5, 0
	v_readfirstlane_b32 s8, v0
	v_readfirstlane_b32 s9, v1
	s_mov_b32 s5, exec_lo
	s_clause 0x1
	global_load_dwordx2 v[10:11], v5, s[26:27] offset:40
	global_load_dwordx4 v[6:9], v5, s[26:27]
	s_waitcnt vmcnt(1)
	v_readfirstlane_b32 s12, v10
	v_readfirstlane_b32 s13, v11
	s_and_b64 s[12:13], s[8:9], s[12:13]
	s_mul_i32 s14, s13, 24
	s_mul_hi_u32 s15, s12, 24
	s_mul_i32 s16, s12, 24
	s_add_i32 s15, s15, s14
	s_waitcnt vmcnt(0)
	v_add_co_u32 v10, vcc_lo, v6, s16
	v_add_co_ci_u32_e32 v11, vcc_lo, s15, v7, vcc_lo
	s_and_saveexec_b32 s14, s4
	s_cbranch_execz .LBB4_793
; %bb.792:
	v_mov_b32_e32 v4, s5
	v_mov_b32_e32 v13, v5
	;; [unrolled: 1-line block ×5, first 2 shown]
	global_store_dwordx4 v[10:11], v[12:15], off offset:8
.LBB4_793:
	s_or_b32 exec_lo, exec_lo, s14
	s_lshl_b64 s[12:13], s[12:13], 12
	v_and_or_b32 v2, 0xffffff1d, v2, 34
	v_add_co_u32 v0, vcc_lo, v8, s12
	v_add_co_ci_u32_e32 v1, vcc_lo, s13, v9, vcc_lo
	s_mov_b32 s12, 0
	v_mov_b32_e32 v4, 58
	s_mov_b32 s13, s12
	s_mov_b32 s14, s12
	;; [unrolled: 1-line block ×3, first 2 shown]
	v_readfirstlane_b32 s16, v0
	v_readfirstlane_b32 s17, v1
	v_mov_b32_e32 v12, s12
	v_mov_b32_e32 v13, s13
	;; [unrolled: 1-line block ×4, first 2 shown]
	global_store_dwordx4 v36, v[2:5], s[16:17]
	global_store_dwordx4 v36, v[12:15], s[16:17] offset:16
	global_store_dwordx4 v36, v[12:15], s[16:17] offset:32
	;; [unrolled: 1-line block ×3, first 2 shown]
	s_and_saveexec_b32 s5, s4
	s_cbranch_execz .LBB4_801
; %bb.794:
	v_mov_b32_e32 v8, 0
	v_mov_b32_e32 v12, s8
	;; [unrolled: 1-line block ×3, first 2 shown]
	s_clause 0x1
	global_load_dwordx2 v[14:15], v8, s[26:27] offset:32 glc dlc
	global_load_dwordx2 v[0:1], v8, s[26:27] offset:40
	s_waitcnt vmcnt(0)
	v_readfirstlane_b32 s12, v0
	v_readfirstlane_b32 s13, v1
	s_and_b64 s[12:13], s[12:13], s[8:9]
	s_mul_i32 s13, s13, 24
	s_mul_hi_u32 s14, s12, 24
	s_mul_i32 s12, s12, 24
	s_add_i32 s14, s14, s13
	v_add_co_u32 v4, vcc_lo, v6, s12
	v_add_co_ci_u32_e32 v5, vcc_lo, s14, v7, vcc_lo
	s_mov_b32 s12, exec_lo
	global_store_dwordx2 v[4:5], v[14:15], off
	s_waitcnt_vscnt null, 0x0
	global_atomic_cmpswap_x2 v[2:3], v8, v[12:15], s[26:27] offset:32 glc
	s_waitcnt vmcnt(0)
	v_cmpx_ne_u64_e64 v[2:3], v[14:15]
	s_cbranch_execz .LBB4_797
; %bb.795:
	s_mov_b32 s13, 0
.LBB4_796:                              ; =>This Inner Loop Header: Depth=1
	v_mov_b32_e32 v0, s8
	v_mov_b32_e32 v1, s9
	s_sleep 1
	global_store_dwordx2 v[4:5], v[2:3], off
	s_waitcnt_vscnt null, 0x0
	global_atomic_cmpswap_x2 v[0:1], v8, v[0:3], s[26:27] offset:32 glc
	s_waitcnt vmcnt(0)
	v_cmp_eq_u64_e32 vcc_lo, v[0:1], v[2:3]
	v_mov_b32_e32 v3, v1
	v_mov_b32_e32 v2, v0
	s_or_b32 s13, vcc_lo, s13
	s_andn2_b32 exec_lo, exec_lo, s13
	s_cbranch_execnz .LBB4_796
.LBB4_797:
	s_or_b32 exec_lo, exec_lo, s12
	v_mov_b32_e32 v3, 0
	s_mov_b32 s13, exec_lo
	s_mov_b32 s12, exec_lo
	v_mbcnt_lo_u32_b32 v2, s13, 0
	global_load_dwordx2 v[0:1], v3, s[26:27] offset:16
	v_cmpx_eq_u32_e32 0, v2
	s_cbranch_execz .LBB4_799
; %bb.798:
	s_bcnt1_i32_b32 s13, s13
	v_mov_b32_e32 v2, s13
	s_waitcnt vmcnt(0)
	global_atomic_add_x2 v[0:1], v[2:3], off offset:8
.LBB4_799:
	s_or_b32 exec_lo, exec_lo, s12
	s_waitcnt vmcnt(0)
	global_load_dwordx2 v[2:3], v[0:1], off offset:16
	s_waitcnt vmcnt(0)
	v_cmp_eq_u64_e32 vcc_lo, 0, v[2:3]
	s_cbranch_vccnz .LBB4_801
; %bb.800:
	global_load_dword v0, v[0:1], off offset:24
	v_mov_b32_e32 v1, 0
	s_waitcnt vmcnt(0)
	v_and_b32_e32 v4, 0x7fffff, v0
	s_waitcnt_vscnt null, 0x0
	global_store_dwordx2 v[2:3], v[0:1], off
	v_readfirstlane_b32 m0, v4
	s_sendmsg sendmsg(MSG_INTERRUPT)
.LBB4_801:
	s_or_b32 exec_lo, exec_lo, s5
	s_branch .LBB4_805
	.p2align	6
.LBB4_802:                              ;   in Loop: Header=BB4_805 Depth=1
	s_or_b32 exec_lo, exec_lo, s5
	v_readfirstlane_b32 s5, v0
	s_cmp_eq_u32 s5, 0
	s_cbranch_scc1 .LBB4_804
; %bb.803:                              ;   in Loop: Header=BB4_805 Depth=1
	s_sleep 1
	s_cbranch_execnz .LBB4_805
	s_branch .LBB4_807
	.p2align	6
.LBB4_804:
	s_branch .LBB4_807
.LBB4_805:                              ; =>This Inner Loop Header: Depth=1
	v_mov_b32_e32 v0, 1
	s_and_saveexec_b32 s5, s4
	s_cbranch_execz .LBB4_802
; %bb.806:                              ;   in Loop: Header=BB4_805 Depth=1
	global_load_dword v0, v[10:11], off offset:20 glc dlc
	s_waitcnt vmcnt(0)
	buffer_gl1_inv
	buffer_gl0_inv
	v_and_b32_e32 v0, 1, v0
	s_branch .LBB4_802
.LBB4_807:
	s_and_saveexec_b32 s5, s4
	s_cbranch_execz .LBB4_811
; %bb.808:
	v_mov_b32_e32 v6, 0
	s_clause 0x2
	global_load_dwordx2 v[2:3], v6, s[26:27] offset:40
	global_load_dwordx2 v[7:8], v6, s[26:27] offset:24 glc dlc
	global_load_dwordx2 v[4:5], v6, s[26:27]
	s_waitcnt vmcnt(2)
	v_add_co_u32 v9, vcc_lo, v2, 1
	v_add_co_ci_u32_e32 v10, vcc_lo, 0, v3, vcc_lo
	v_add_co_u32 v0, vcc_lo, v9, s8
	v_add_co_ci_u32_e32 v1, vcc_lo, s9, v10, vcc_lo
	v_cmp_eq_u64_e32 vcc_lo, 0, v[0:1]
	v_cndmask_b32_e32 v1, v1, v10, vcc_lo
	v_cndmask_b32_e32 v0, v0, v9, vcc_lo
	v_and_b32_e32 v3, v1, v3
	v_and_b32_e32 v2, v0, v2
	v_mul_lo_u32 v3, v3, 24
	v_mul_hi_u32 v9, v2, 24
	v_mul_lo_u32 v2, v2, 24
	v_add_nc_u32_e32 v3, v9, v3
	s_waitcnt vmcnt(0)
	v_add_co_u32 v4, vcc_lo, v4, v2
	v_mov_b32_e32 v2, v7
	v_add_co_ci_u32_e32 v5, vcc_lo, v5, v3, vcc_lo
	v_mov_b32_e32 v3, v8
	global_store_dwordx2 v[4:5], v[7:8], off
	s_waitcnt_vscnt null, 0x0
	global_atomic_cmpswap_x2 v[2:3], v6, v[0:3], s[26:27] offset:24 glc
	s_waitcnt vmcnt(0)
	v_cmp_ne_u64_e32 vcc_lo, v[2:3], v[7:8]
	s_and_b32 exec_lo, exec_lo, vcc_lo
	s_cbranch_execz .LBB4_811
; %bb.809:
	s_mov_b32 s4, 0
.LBB4_810:                              ; =>This Inner Loop Header: Depth=1
	s_sleep 1
	global_store_dwordx2 v[4:5], v[2:3], off
	s_waitcnt_vscnt null, 0x0
	global_atomic_cmpswap_x2 v[7:8], v6, v[0:3], s[26:27] offset:24 glc
	s_waitcnt vmcnt(0)
	v_cmp_eq_u64_e32 vcc_lo, v[7:8], v[2:3]
	v_mov_b32_e32 v2, v7
	v_mov_b32_e32 v3, v8
	s_or_b32 s4, vcc_lo, s4
	s_andn2_b32 exec_lo, exec_lo, s4
	s_cbranch_execnz .LBB4_810
.LBB4_811:
	s_or_b32 exec_lo, exec_lo, s5
	v_readfirstlane_b32 s4, v37
	v_mov_b32_e32 v6, 0
	v_mov_b32_e32 v7, 0
	v_cmp_eq_u32_e64 s4, s4, v37
	s_and_saveexec_b32 s5, s4
	s_cbranch_execz .LBB4_817
; %bb.812:
	v_mov_b32_e32 v0, 0
	s_mov_b32 s8, exec_lo
	global_load_dwordx2 v[3:4], v0, s[26:27] offset:24 glc dlc
	s_waitcnt vmcnt(0)
	buffer_gl1_inv
	buffer_gl0_inv
	s_clause 0x1
	global_load_dwordx2 v[1:2], v0, s[26:27] offset:40
	global_load_dwordx2 v[5:6], v0, s[26:27]
	s_waitcnt vmcnt(1)
	v_and_b32_e32 v2, v2, v4
	v_and_b32_e32 v1, v1, v3
	v_mul_lo_u32 v2, v2, 24
	v_mul_hi_u32 v7, v1, 24
	v_mul_lo_u32 v1, v1, 24
	v_add_nc_u32_e32 v2, v7, v2
	s_waitcnt vmcnt(0)
	v_add_co_u32 v1, vcc_lo, v5, v1
	v_add_co_ci_u32_e32 v2, vcc_lo, v6, v2, vcc_lo
	global_load_dwordx2 v[1:2], v[1:2], off glc dlc
	s_waitcnt vmcnt(0)
	global_atomic_cmpswap_x2 v[6:7], v0, v[1:4], s[26:27] offset:24 glc
	s_waitcnt vmcnt(0)
	buffer_gl1_inv
	buffer_gl0_inv
	v_cmpx_ne_u64_e64 v[6:7], v[3:4]
	s_cbranch_execz .LBB4_816
; %bb.813:
	s_mov_b32 s9, 0
	.p2align	6
.LBB4_814:                              ; =>This Inner Loop Header: Depth=1
	s_sleep 1
	s_clause 0x1
	global_load_dwordx2 v[1:2], v0, s[26:27] offset:40
	global_load_dwordx2 v[8:9], v0, s[26:27]
	v_mov_b32_e32 v3, v6
	v_mov_b32_e32 v4, v7
	s_waitcnt vmcnt(1)
	v_and_b32_e32 v1, v1, v3
	v_and_b32_e32 v2, v2, v4
	s_waitcnt vmcnt(0)
	v_mad_u64_u32 v[5:6], null, v1, 24, v[8:9]
	v_mov_b32_e32 v1, v6
	v_mad_u64_u32 v[1:2], null, v2, 24, v[1:2]
	v_mov_b32_e32 v6, v1
	global_load_dwordx2 v[1:2], v[5:6], off glc dlc
	s_waitcnt vmcnt(0)
	global_atomic_cmpswap_x2 v[6:7], v0, v[1:4], s[26:27] offset:24 glc
	s_waitcnt vmcnt(0)
	buffer_gl1_inv
	buffer_gl0_inv
	v_cmp_eq_u64_e32 vcc_lo, v[6:7], v[3:4]
	s_or_b32 s9, vcc_lo, s9
	s_andn2_b32 exec_lo, exec_lo, s9
	s_cbranch_execnz .LBB4_814
; %bb.815:
	s_or_b32 exec_lo, exec_lo, s9
.LBB4_816:
	s_or_b32 exec_lo, exec_lo, s8
.LBB4_817:
	s_or_b32 exec_lo, exec_lo, s5
	v_mov_b32_e32 v5, 0
	v_readfirstlane_b32 s8, v6
	v_readfirstlane_b32 s9, v7
	s_mov_b32 s5, exec_lo
	s_clause 0x1
	global_load_dwordx2 v[8:9], v5, s[26:27] offset:40
	global_load_dwordx4 v[0:3], v5, s[26:27]
	s_waitcnt vmcnt(1)
	v_readfirstlane_b32 s12, v8
	v_readfirstlane_b32 s13, v9
	s_and_b64 s[12:13], s[8:9], s[12:13]
	s_mul_i32 s14, s13, 24
	s_mul_hi_u32 s15, s12, 24
	s_mul_i32 s16, s12, 24
	s_add_i32 s15, s15, s14
	s_waitcnt vmcnt(0)
	v_add_co_u32 v8, vcc_lo, v0, s16
	v_add_co_ci_u32_e32 v9, vcc_lo, s15, v1, vcc_lo
	s_and_saveexec_b32 s14, s4
	s_cbranch_execz .LBB4_819
; %bb.818:
	v_mov_b32_e32 v4, s5
	v_mov_b32_e32 v6, 2
	;; [unrolled: 1-line block ×3, first 2 shown]
	global_store_dwordx4 v[8:9], v[4:7], off offset:8
.LBB4_819:
	s_or_b32 exec_lo, exec_lo, s14
	s_lshl_b64 s[12:13], s[12:13], 12
	v_mov_b32_e32 v4, 33
	v_add_co_u32 v2, vcc_lo, v2, s12
	v_add_co_ci_u32_e32 v3, vcc_lo, s13, v3, vcc_lo
	s_mov_b32 s12, 0
	v_add_co_u32 v10, vcc_lo, v2, v36
	s_mov_b32 s13, s12
	s_mov_b32 s14, s12
	;; [unrolled: 1-line block ×3, first 2 shown]
	v_mov_b32_e32 v6, v5
	v_mov_b32_e32 v7, v5
	v_readfirstlane_b32 s16, v2
	v_readfirstlane_b32 s17, v3
	v_mov_b32_e32 v12, s12
	v_add_co_ci_u32_e32 v11, vcc_lo, 0, v3, vcc_lo
	v_mov_b32_e32 v13, s13
	v_mov_b32_e32 v14, s14
	;; [unrolled: 1-line block ×3, first 2 shown]
	global_store_dwordx4 v36, v[4:7], s[16:17]
	global_store_dwordx4 v36, v[12:15], s[16:17] offset:16
	global_store_dwordx4 v36, v[12:15], s[16:17] offset:32
	;; [unrolled: 1-line block ×3, first 2 shown]
	s_and_saveexec_b32 s5, s4
	s_cbranch_execz .LBB4_827
; %bb.820:
	v_mov_b32_e32 v6, 0
	v_mov_b32_e32 v12, s8
	v_mov_b32_e32 v13, s9
	s_clause 0x1
	global_load_dwordx2 v[14:15], v6, s[26:27] offset:32 glc dlc
	global_load_dwordx2 v[2:3], v6, s[26:27] offset:40
	s_waitcnt vmcnt(0)
	v_readfirstlane_b32 s12, v2
	v_readfirstlane_b32 s13, v3
	s_and_b64 s[12:13], s[12:13], s[8:9]
	s_mul_i32 s13, s13, 24
	s_mul_hi_u32 s14, s12, 24
	s_mul_i32 s12, s12, 24
	s_add_i32 s14, s14, s13
	v_add_co_u32 v4, vcc_lo, v0, s12
	v_add_co_ci_u32_e32 v5, vcc_lo, s14, v1, vcc_lo
	s_mov_b32 s12, exec_lo
	global_store_dwordx2 v[4:5], v[14:15], off
	s_waitcnt_vscnt null, 0x0
	global_atomic_cmpswap_x2 v[2:3], v6, v[12:15], s[26:27] offset:32 glc
	s_waitcnt vmcnt(0)
	v_cmpx_ne_u64_e64 v[2:3], v[14:15]
	s_cbranch_execz .LBB4_823
; %bb.821:
	s_mov_b32 s13, 0
.LBB4_822:                              ; =>This Inner Loop Header: Depth=1
	v_mov_b32_e32 v0, s8
	v_mov_b32_e32 v1, s9
	s_sleep 1
	global_store_dwordx2 v[4:5], v[2:3], off
	s_waitcnt_vscnt null, 0x0
	global_atomic_cmpswap_x2 v[0:1], v6, v[0:3], s[26:27] offset:32 glc
	s_waitcnt vmcnt(0)
	v_cmp_eq_u64_e32 vcc_lo, v[0:1], v[2:3]
	v_mov_b32_e32 v3, v1
	v_mov_b32_e32 v2, v0
	s_or_b32 s13, vcc_lo, s13
	s_andn2_b32 exec_lo, exec_lo, s13
	s_cbranch_execnz .LBB4_822
.LBB4_823:
	s_or_b32 exec_lo, exec_lo, s12
	v_mov_b32_e32 v3, 0
	s_mov_b32 s13, exec_lo
	s_mov_b32 s12, exec_lo
	v_mbcnt_lo_u32_b32 v2, s13, 0
	global_load_dwordx2 v[0:1], v3, s[26:27] offset:16
	v_cmpx_eq_u32_e32 0, v2
	s_cbranch_execz .LBB4_825
; %bb.824:
	s_bcnt1_i32_b32 s13, s13
	v_mov_b32_e32 v2, s13
	s_waitcnt vmcnt(0)
	global_atomic_add_x2 v[0:1], v[2:3], off offset:8
.LBB4_825:
	s_or_b32 exec_lo, exec_lo, s12
	s_waitcnt vmcnt(0)
	global_load_dwordx2 v[2:3], v[0:1], off offset:16
	s_waitcnt vmcnt(0)
	v_cmp_eq_u64_e32 vcc_lo, 0, v[2:3]
	s_cbranch_vccnz .LBB4_827
; %bb.826:
	global_load_dword v0, v[0:1], off offset:24
	v_mov_b32_e32 v1, 0
	s_waitcnt vmcnt(0)
	v_and_b32_e32 v4, 0x7fffff, v0
	s_waitcnt_vscnt null, 0x0
	global_store_dwordx2 v[2:3], v[0:1], off
	v_readfirstlane_b32 m0, v4
	s_sendmsg sendmsg(MSG_INTERRUPT)
.LBB4_827:
	s_or_b32 exec_lo, exec_lo, s5
	s_branch .LBB4_831
	.p2align	6
.LBB4_828:                              ;   in Loop: Header=BB4_831 Depth=1
	s_or_b32 exec_lo, exec_lo, s5
	v_readfirstlane_b32 s5, v0
	s_cmp_eq_u32 s5, 0
	s_cbranch_scc1 .LBB4_830
; %bb.829:                              ;   in Loop: Header=BB4_831 Depth=1
	s_sleep 1
	s_cbranch_execnz .LBB4_831
	s_branch .LBB4_833
	.p2align	6
.LBB4_830:
	s_branch .LBB4_833
.LBB4_831:                              ; =>This Inner Loop Header: Depth=1
	v_mov_b32_e32 v0, 1
	s_and_saveexec_b32 s5, s4
	s_cbranch_execz .LBB4_828
; %bb.832:                              ;   in Loop: Header=BB4_831 Depth=1
	global_load_dword v0, v[8:9], off offset:20 glc dlc
	s_waitcnt vmcnt(0)
	buffer_gl1_inv
	buffer_gl0_inv
	v_and_b32_e32 v0, 1, v0
	s_branch .LBB4_828
.LBB4_833:
	global_load_dwordx2 v[0:1], v[10:11], off
	s_and_saveexec_b32 s5, s4
	s_cbranch_execz .LBB4_837
; %bb.834:
	v_mov_b32_e32 v8, 0
	s_clause 0x2
	global_load_dwordx2 v[4:5], v8, s[26:27] offset:40
	global_load_dwordx2 v[9:10], v8, s[26:27] offset:24 glc dlc
	global_load_dwordx2 v[6:7], v8, s[26:27]
	s_waitcnt vmcnt(2)
	v_add_co_u32 v11, vcc_lo, v4, 1
	v_add_co_ci_u32_e32 v12, vcc_lo, 0, v5, vcc_lo
	v_add_co_u32 v2, vcc_lo, v11, s8
	v_add_co_ci_u32_e32 v3, vcc_lo, s9, v12, vcc_lo
	v_cmp_eq_u64_e32 vcc_lo, 0, v[2:3]
	v_cndmask_b32_e32 v3, v3, v12, vcc_lo
	v_cndmask_b32_e32 v2, v2, v11, vcc_lo
	v_and_b32_e32 v5, v3, v5
	v_and_b32_e32 v4, v2, v4
	v_mul_lo_u32 v5, v5, 24
	v_mul_hi_u32 v11, v4, 24
	v_mul_lo_u32 v4, v4, 24
	v_add_nc_u32_e32 v5, v11, v5
	s_waitcnt vmcnt(0)
	v_add_co_u32 v6, vcc_lo, v6, v4
	v_mov_b32_e32 v4, v9
	v_add_co_ci_u32_e32 v7, vcc_lo, v7, v5, vcc_lo
	v_mov_b32_e32 v5, v10
	global_store_dwordx2 v[6:7], v[9:10], off
	s_waitcnt_vscnt null, 0x0
	global_atomic_cmpswap_x2 v[4:5], v8, v[2:5], s[26:27] offset:24 glc
	s_waitcnt vmcnt(0)
	v_cmp_ne_u64_e32 vcc_lo, v[4:5], v[9:10]
	s_and_b32 exec_lo, exec_lo, vcc_lo
	s_cbranch_execz .LBB4_837
; %bb.835:
	s_mov_b32 s4, 0
.LBB4_836:                              ; =>This Inner Loop Header: Depth=1
	s_sleep 1
	global_store_dwordx2 v[6:7], v[4:5], off
	s_waitcnt_vscnt null, 0x0
	global_atomic_cmpswap_x2 v[9:10], v8, v[2:5], s[26:27] offset:24 glc
	s_waitcnt vmcnt(0)
	v_cmp_eq_u64_e32 vcc_lo, v[9:10], v[4:5]
	v_mov_b32_e32 v4, v9
	v_mov_b32_e32 v5, v10
	s_or_b32 s4, vcc_lo, s4
	s_andn2_b32 exec_lo, exec_lo, s4
	s_cbranch_execnz .LBB4_836
.LBB4_837:
	s_or_b32 exec_lo, exec_lo, s5
	s_getpc_b64 s[8:9]
	s_add_u32 s8, s8, .str.7@rel32@lo+4
	s_addc_u32 s9, s9, .str.7@rel32@hi+12
	s_cmp_lg_u64 s[8:9], 0
	s_cbranch_scc0 .LBB4_916
; %bb.838:
	s_waitcnt vmcnt(0)
	v_and_b32_e32 v31, 2, v0
	v_mov_b32_e32 v6, 0
	v_and_b32_e32 v2, -3, v0
	v_mov_b32_e32 v3, v1
	v_mov_b32_e32 v7, 2
	;; [unrolled: 1-line block ×3, first 2 shown]
	s_mov_b64 s[12:13], 4
	s_branch .LBB4_840
.LBB4_839:                              ;   in Loop: Header=BB4_840 Depth=1
	s_or_b32 exec_lo, exec_lo, s5
	s_sub_u32 s12, s12, s14
	s_subb_u32 s13, s13, s15
	s_add_u32 s8, s8, s14
	s_addc_u32 s9, s9, s15
	s_cmp_lg_u64 s[12:13], 0
	s_cbranch_scc0 .LBB4_915
.LBB4_840:                              ; =>This Loop Header: Depth=1
                                        ;     Child Loop BB4_849 Depth 2
                                        ;     Child Loop BB4_845 Depth 2
	;; [unrolled: 1-line block ×11, first 2 shown]
	v_cmp_lt_u64_e64 s4, s[12:13], 56
	v_cmp_gt_u64_e64 s5, s[12:13], 7
                                        ; implicit-def: $vgpr11_vgpr12
                                        ; implicit-def: $sgpr22
	s_and_b32 s4, s4, exec_lo
	s_cselect_b32 s15, s13, 0
	s_cselect_b32 s14, s12, 56
	s_and_b32 vcc_lo, exec_lo, s5
	s_mov_b32 s4, -1
	s_cbranch_vccz .LBB4_847
; %bb.841:                              ;   in Loop: Header=BB4_840 Depth=1
	s_andn2_b32 vcc_lo, exec_lo, s4
	s_mov_b64 s[4:5], s[8:9]
	s_cbranch_vccz .LBB4_851
.LBB4_842:                              ;   in Loop: Header=BB4_840 Depth=1
	s_cmp_gt_u32 s22, 7
	s_cbranch_scc1 .LBB4_852
.LBB4_843:                              ;   in Loop: Header=BB4_840 Depth=1
	v_mov_b32_e32 v13, 0
	v_mov_b32_e32 v14, 0
	s_cmp_eq_u32 s22, 0
	s_cbranch_scc1 .LBB4_846
; %bb.844:                              ;   in Loop: Header=BB4_840 Depth=1
	s_mov_b64 s[16:17], 0
	s_mov_b64 s[18:19], 0
.LBB4_845:                              ;   Parent Loop BB4_840 Depth=1
                                        ; =>  This Inner Loop Header: Depth=2
	s_add_u32 s24, s4, s18
	s_addc_u32 s25, s5, s19
	s_add_u32 s18, s18, 1
	global_load_ubyte v4, v6, s[24:25]
	s_addc_u32 s19, s19, 0
	s_waitcnt vmcnt(0)
	v_and_b32_e32 v5, 0xffff, v4
	v_lshlrev_b64 v[4:5], s16, v[5:6]
	s_add_u32 s16, s16, 8
	s_addc_u32 s17, s17, 0
	s_cmp_lg_u32 s22, s18
	v_or_b32_e32 v13, v4, v13
	v_or_b32_e32 v14, v5, v14
	s_cbranch_scc1 .LBB4_845
.LBB4_846:                              ;   in Loop: Header=BB4_840 Depth=1
	s_mov_b32 s23, 0
	s_cbranch_execz .LBB4_853
	s_branch .LBB4_854
.LBB4_847:                              ;   in Loop: Header=BB4_840 Depth=1
	v_mov_b32_e32 v11, 0
	v_mov_b32_e32 v12, 0
	s_cmp_eq_u64 s[12:13], 0
	s_mov_b64 s[4:5], 0
	s_cbranch_scc1 .LBB4_850
; %bb.848:                              ;   in Loop: Header=BB4_840 Depth=1
	v_mov_b32_e32 v11, 0
	v_mov_b32_e32 v12, 0
	s_lshl_b64 s[16:17], s[14:15], 3
	s_mov_b64 s[18:19], s[8:9]
.LBB4_849:                              ;   Parent Loop BB4_840 Depth=1
                                        ; =>  This Inner Loop Header: Depth=2
	global_load_ubyte v4, v6, s[18:19]
	s_waitcnt vmcnt(0)
	v_and_b32_e32 v5, 0xffff, v4
	v_lshlrev_b64 v[4:5], s4, v[5:6]
	s_add_u32 s4, s4, 8
	s_addc_u32 s5, s5, 0
	s_add_u32 s18, s18, 1
	s_addc_u32 s19, s19, 0
	s_cmp_lg_u32 s16, s4
	v_or_b32_e32 v11, v4, v11
	v_or_b32_e32 v12, v5, v12
	s_cbranch_scc1 .LBB4_849
.LBB4_850:                              ;   in Loop: Header=BB4_840 Depth=1
	s_mov_b32 s22, 0
	s_mov_b64 s[4:5], s[8:9]
	s_cbranch_execnz .LBB4_842
.LBB4_851:                              ;   in Loop: Header=BB4_840 Depth=1
	global_load_dwordx2 v[11:12], v6, s[8:9]
	s_add_i32 s22, s14, -8
	s_add_u32 s4, s8, 8
	s_addc_u32 s5, s9, 0
	s_cmp_gt_u32 s22, 7
	s_cbranch_scc0 .LBB4_843
.LBB4_852:                              ;   in Loop: Header=BB4_840 Depth=1
                                        ; implicit-def: $vgpr13_vgpr14
                                        ; implicit-def: $sgpr23
.LBB4_853:                              ;   in Loop: Header=BB4_840 Depth=1
	global_load_dwordx2 v[13:14], v6, s[4:5]
	s_add_i32 s23, s22, -8
	s_add_u32 s4, s4, 8
	s_addc_u32 s5, s5, 0
.LBB4_854:                              ;   in Loop: Header=BB4_840 Depth=1
	s_cmp_gt_u32 s23, 7
	s_cbranch_scc1 .LBB4_859
; %bb.855:                              ;   in Loop: Header=BB4_840 Depth=1
	v_mov_b32_e32 v15, 0
	v_mov_b32_e32 v16, 0
	s_cmp_eq_u32 s23, 0
	s_cbranch_scc1 .LBB4_858
; %bb.856:                              ;   in Loop: Header=BB4_840 Depth=1
	s_mov_b64 s[16:17], 0
	s_mov_b64 s[18:19], 0
.LBB4_857:                              ;   Parent Loop BB4_840 Depth=1
                                        ; =>  This Inner Loop Header: Depth=2
	s_add_u32 s24, s4, s18
	s_addc_u32 s25, s5, s19
	s_add_u32 s18, s18, 1
	global_load_ubyte v4, v6, s[24:25]
	s_addc_u32 s19, s19, 0
	s_waitcnt vmcnt(0)
	v_and_b32_e32 v5, 0xffff, v4
	v_lshlrev_b64 v[4:5], s16, v[5:6]
	s_add_u32 s16, s16, 8
	s_addc_u32 s17, s17, 0
	s_cmp_lg_u32 s23, s18
	v_or_b32_e32 v15, v4, v15
	v_or_b32_e32 v16, v5, v16
	s_cbranch_scc1 .LBB4_857
.LBB4_858:                              ;   in Loop: Header=BB4_840 Depth=1
	s_mov_b32 s22, 0
	s_cbranch_execz .LBB4_860
	s_branch .LBB4_861
.LBB4_859:                              ;   in Loop: Header=BB4_840 Depth=1
                                        ; implicit-def: $sgpr22
.LBB4_860:                              ;   in Loop: Header=BB4_840 Depth=1
	global_load_dwordx2 v[15:16], v6, s[4:5]
	s_add_i32 s22, s23, -8
	s_add_u32 s4, s4, 8
	s_addc_u32 s5, s5, 0
.LBB4_861:                              ;   in Loop: Header=BB4_840 Depth=1
	s_cmp_gt_u32 s22, 7
	s_cbranch_scc1 .LBB4_866
; %bb.862:                              ;   in Loop: Header=BB4_840 Depth=1
	v_mov_b32_e32 v17, 0
	v_mov_b32_e32 v18, 0
	s_cmp_eq_u32 s22, 0
	s_cbranch_scc1 .LBB4_865
; %bb.863:                              ;   in Loop: Header=BB4_840 Depth=1
	s_mov_b64 s[16:17], 0
	s_mov_b64 s[18:19], 0
.LBB4_864:                              ;   Parent Loop BB4_840 Depth=1
                                        ; =>  This Inner Loop Header: Depth=2
	s_add_u32 s24, s4, s18
	s_addc_u32 s25, s5, s19
	s_add_u32 s18, s18, 1
	global_load_ubyte v4, v6, s[24:25]
	s_addc_u32 s19, s19, 0
	s_waitcnt vmcnt(0)
	v_and_b32_e32 v5, 0xffff, v4
	v_lshlrev_b64 v[4:5], s16, v[5:6]
	s_add_u32 s16, s16, 8
	s_addc_u32 s17, s17, 0
	s_cmp_lg_u32 s22, s18
	v_or_b32_e32 v17, v4, v17
	v_or_b32_e32 v18, v5, v18
	s_cbranch_scc1 .LBB4_864
.LBB4_865:                              ;   in Loop: Header=BB4_840 Depth=1
	s_mov_b32 s23, 0
	s_cbranch_execz .LBB4_867
	s_branch .LBB4_868
.LBB4_866:                              ;   in Loop: Header=BB4_840 Depth=1
                                        ; implicit-def: $vgpr17_vgpr18
                                        ; implicit-def: $sgpr23
.LBB4_867:                              ;   in Loop: Header=BB4_840 Depth=1
	global_load_dwordx2 v[17:18], v6, s[4:5]
	s_add_i32 s23, s22, -8
	s_add_u32 s4, s4, 8
	s_addc_u32 s5, s5, 0
.LBB4_868:                              ;   in Loop: Header=BB4_840 Depth=1
	s_cmp_gt_u32 s23, 7
	s_cbranch_scc1 .LBB4_873
; %bb.869:                              ;   in Loop: Header=BB4_840 Depth=1
	v_mov_b32_e32 v19, 0
	v_mov_b32_e32 v20, 0
	s_cmp_eq_u32 s23, 0
	s_cbranch_scc1 .LBB4_872
; %bb.870:                              ;   in Loop: Header=BB4_840 Depth=1
	s_mov_b64 s[16:17], 0
	s_mov_b64 s[18:19], 0
.LBB4_871:                              ;   Parent Loop BB4_840 Depth=1
                                        ; =>  This Inner Loop Header: Depth=2
	s_add_u32 s24, s4, s18
	s_addc_u32 s25, s5, s19
	s_add_u32 s18, s18, 1
	global_load_ubyte v4, v6, s[24:25]
	s_addc_u32 s19, s19, 0
	s_waitcnt vmcnt(0)
	v_and_b32_e32 v5, 0xffff, v4
	v_lshlrev_b64 v[4:5], s16, v[5:6]
	s_add_u32 s16, s16, 8
	s_addc_u32 s17, s17, 0
	s_cmp_lg_u32 s23, s18
	v_or_b32_e32 v19, v4, v19
	v_or_b32_e32 v20, v5, v20
	s_cbranch_scc1 .LBB4_871
.LBB4_872:                              ;   in Loop: Header=BB4_840 Depth=1
	s_mov_b32 s22, 0
	s_cbranch_execz .LBB4_874
	s_branch .LBB4_875
.LBB4_873:                              ;   in Loop: Header=BB4_840 Depth=1
                                        ; implicit-def: $sgpr22
.LBB4_874:                              ;   in Loop: Header=BB4_840 Depth=1
	global_load_dwordx2 v[19:20], v6, s[4:5]
	s_add_i32 s22, s23, -8
	s_add_u32 s4, s4, 8
	s_addc_u32 s5, s5, 0
.LBB4_875:                              ;   in Loop: Header=BB4_840 Depth=1
	s_cmp_gt_u32 s22, 7
	s_cbranch_scc1 .LBB4_880
; %bb.876:                              ;   in Loop: Header=BB4_840 Depth=1
	v_mov_b32_e32 v21, 0
	v_mov_b32_e32 v22, 0
	s_cmp_eq_u32 s22, 0
	s_cbranch_scc1 .LBB4_879
; %bb.877:                              ;   in Loop: Header=BB4_840 Depth=1
	s_mov_b64 s[16:17], 0
	s_mov_b64 s[18:19], 0
.LBB4_878:                              ;   Parent Loop BB4_840 Depth=1
                                        ; =>  This Inner Loop Header: Depth=2
	s_add_u32 s24, s4, s18
	s_addc_u32 s25, s5, s19
	s_add_u32 s18, s18, 1
	global_load_ubyte v4, v6, s[24:25]
	s_addc_u32 s19, s19, 0
	s_waitcnt vmcnt(0)
	v_and_b32_e32 v5, 0xffff, v4
	v_lshlrev_b64 v[4:5], s16, v[5:6]
	s_add_u32 s16, s16, 8
	s_addc_u32 s17, s17, 0
	s_cmp_lg_u32 s22, s18
	v_or_b32_e32 v21, v4, v21
	v_or_b32_e32 v22, v5, v22
	s_cbranch_scc1 .LBB4_878
.LBB4_879:                              ;   in Loop: Header=BB4_840 Depth=1
	s_mov_b32 s23, 0
	s_cbranch_execz .LBB4_881
	s_branch .LBB4_882
.LBB4_880:                              ;   in Loop: Header=BB4_840 Depth=1
                                        ; implicit-def: $vgpr21_vgpr22
                                        ; implicit-def: $sgpr23
.LBB4_881:                              ;   in Loop: Header=BB4_840 Depth=1
	global_load_dwordx2 v[21:22], v6, s[4:5]
	s_add_i32 s23, s22, -8
	s_add_u32 s4, s4, 8
	s_addc_u32 s5, s5, 0
.LBB4_882:                              ;   in Loop: Header=BB4_840 Depth=1
	s_cmp_gt_u32 s23, 7
	s_cbranch_scc1 .LBB4_887
; %bb.883:                              ;   in Loop: Header=BB4_840 Depth=1
	v_mov_b32_e32 v23, 0
	v_mov_b32_e32 v24, 0
	s_cmp_eq_u32 s23, 0
	s_cbranch_scc1 .LBB4_886
; %bb.884:                              ;   in Loop: Header=BB4_840 Depth=1
	s_mov_b64 s[16:17], 0
	s_mov_b64 s[18:19], s[4:5]
.LBB4_885:                              ;   Parent Loop BB4_840 Depth=1
                                        ; =>  This Inner Loop Header: Depth=2
	global_load_ubyte v4, v6, s[18:19]
	s_add_i32 s23, s23, -1
	s_waitcnt vmcnt(0)
	v_and_b32_e32 v5, 0xffff, v4
	v_lshlrev_b64 v[4:5], s16, v[5:6]
	s_add_u32 s16, s16, 8
	s_addc_u32 s17, s17, 0
	s_add_u32 s18, s18, 1
	s_addc_u32 s19, s19, 0
	s_cmp_lg_u32 s23, 0
	v_or_b32_e32 v23, v4, v23
	v_or_b32_e32 v24, v5, v24
	s_cbranch_scc1 .LBB4_885
.LBB4_886:                              ;   in Loop: Header=BB4_840 Depth=1
	s_cbranch_execz .LBB4_888
	s_branch .LBB4_889
.LBB4_887:                              ;   in Loop: Header=BB4_840 Depth=1
.LBB4_888:                              ;   in Loop: Header=BB4_840 Depth=1
	global_load_dwordx2 v[23:24], v6, s[4:5]
.LBB4_889:                              ;   in Loop: Header=BB4_840 Depth=1
	v_readfirstlane_b32 s4, v37
	s_waitcnt vmcnt(0)
	v_mov_b32_e32 v4, 0
	v_mov_b32_e32 v5, 0
	v_cmp_eq_u32_e64 s4, s4, v37
	s_and_saveexec_b32 s5, s4
	s_cbranch_execz .LBB4_895
; %bb.890:                              ;   in Loop: Header=BB4_840 Depth=1
	global_load_dwordx2 v[27:28], v6, s[26:27] offset:24 glc dlc
	s_waitcnt vmcnt(0)
	buffer_gl1_inv
	buffer_gl0_inv
	s_clause 0x1
	global_load_dwordx2 v[4:5], v6, s[26:27] offset:40
	global_load_dwordx2 v[9:10], v6, s[26:27]
	s_mov_b32 s16, exec_lo
	s_waitcnt vmcnt(1)
	v_and_b32_e32 v5, v5, v28
	v_and_b32_e32 v4, v4, v27
	v_mul_lo_u32 v5, v5, 24
	v_mul_hi_u32 v25, v4, 24
	v_mul_lo_u32 v4, v4, 24
	v_add_nc_u32_e32 v5, v25, v5
	s_waitcnt vmcnt(0)
	v_add_co_u32 v4, vcc_lo, v9, v4
	v_add_co_ci_u32_e32 v5, vcc_lo, v10, v5, vcc_lo
	global_load_dwordx2 v[25:26], v[4:5], off glc dlc
	s_waitcnt vmcnt(0)
	global_atomic_cmpswap_x2 v[4:5], v6, v[25:28], s[26:27] offset:24 glc
	s_waitcnt vmcnt(0)
	buffer_gl1_inv
	buffer_gl0_inv
	v_cmpx_ne_u64_e64 v[4:5], v[27:28]
	s_cbranch_execz .LBB4_894
; %bb.891:                              ;   in Loop: Header=BB4_840 Depth=1
	s_mov_b32 s17, 0
	.p2align	6
.LBB4_892:                              ;   Parent Loop BB4_840 Depth=1
                                        ; =>  This Inner Loop Header: Depth=2
	s_sleep 1
	s_clause 0x1
	global_load_dwordx2 v[9:10], v6, s[26:27] offset:40
	global_load_dwordx2 v[25:26], v6, s[26:27]
	v_mov_b32_e32 v28, v5
	v_mov_b32_e32 v27, v4
	s_waitcnt vmcnt(1)
	v_and_b32_e32 v4, v9, v27
	v_and_b32_e32 v9, v10, v28
	s_waitcnt vmcnt(0)
	v_mad_u64_u32 v[4:5], null, v4, 24, v[25:26]
	v_mad_u64_u32 v[9:10], null, v9, 24, v[5:6]
	v_mov_b32_e32 v5, v9
	global_load_dwordx2 v[25:26], v[4:5], off glc dlc
	s_waitcnt vmcnt(0)
	global_atomic_cmpswap_x2 v[4:5], v6, v[25:28], s[26:27] offset:24 glc
	s_waitcnt vmcnt(0)
	buffer_gl1_inv
	buffer_gl0_inv
	v_cmp_eq_u64_e32 vcc_lo, v[4:5], v[27:28]
	s_or_b32 s17, vcc_lo, s17
	s_andn2_b32 exec_lo, exec_lo, s17
	s_cbranch_execnz .LBB4_892
; %bb.893:                              ;   in Loop: Header=BB4_840 Depth=1
	s_or_b32 exec_lo, exec_lo, s17
.LBB4_894:                              ;   in Loop: Header=BB4_840 Depth=1
	s_or_b32 exec_lo, exec_lo, s16
.LBB4_895:                              ;   in Loop: Header=BB4_840 Depth=1
	s_or_b32 exec_lo, exec_lo, s5
	s_clause 0x1
	global_load_dwordx2 v[9:10], v6, s[26:27] offset:40
	global_load_dwordx4 v[25:28], v6, s[26:27]
	v_readfirstlane_b32 s16, v4
	v_readfirstlane_b32 s17, v5
	s_mov_b32 s5, exec_lo
	s_waitcnt vmcnt(1)
	v_readfirstlane_b32 s18, v9
	v_readfirstlane_b32 s19, v10
	s_and_b64 s[18:19], s[16:17], s[18:19]
	s_mul_i32 s22, s19, 24
	s_mul_hi_u32 s23, s18, 24
	s_mul_i32 s24, s18, 24
	s_add_i32 s23, s23, s22
	s_waitcnt vmcnt(0)
	v_add_co_u32 v29, vcc_lo, v25, s24
	v_add_co_ci_u32_e32 v30, vcc_lo, s23, v26, vcc_lo
	s_and_saveexec_b32 s22, s4
	s_cbranch_execz .LBB4_897
; %bb.896:                              ;   in Loop: Header=BB4_840 Depth=1
	v_mov_b32_e32 v5, s5
	global_store_dwordx4 v[29:30], v[5:8], off offset:8
.LBB4_897:                              ;   in Loop: Header=BB4_840 Depth=1
	s_or_b32 exec_lo, exec_lo, s22
	s_lshl_b64 s[18:19], s[18:19], 12
	v_cmp_gt_u64_e64 vcc_lo, s[12:13], 56
	v_or_b32_e32 v5, v2, v31
	v_add_co_u32 v27, s5, v27, s18
	v_add_co_ci_u32_e64 v28, s5, s19, v28, s5
	s_lshl_b32 s5, s14, 2
	v_or_b32_e32 v4, 0, v3
	v_cndmask_b32_e32 v2, v5, v2, vcc_lo
	s_add_i32 s5, s5, 28
	v_readfirstlane_b32 s18, v27
	s_and_b32 s5, s5, 0x1e0
	v_cndmask_b32_e32 v10, v4, v3, vcc_lo
	v_readfirstlane_b32 s19, v28
	v_and_or_b32 v9, 0xffffff1f, v2, s5
	global_store_dwordx4 v36, v[9:12], s[18:19]
	global_store_dwordx4 v36, v[13:16], s[18:19] offset:16
	global_store_dwordx4 v36, v[17:20], s[18:19] offset:32
	global_store_dwordx4 v36, v[21:24], s[18:19] offset:48
	s_and_saveexec_b32 s5, s4
	s_cbranch_execz .LBB4_905
; %bb.898:                              ;   in Loop: Header=BB4_840 Depth=1
	s_clause 0x1
	global_load_dwordx2 v[13:14], v6, s[26:27] offset:32 glc dlc
	global_load_dwordx2 v[2:3], v6, s[26:27] offset:40
	v_mov_b32_e32 v11, s16
	v_mov_b32_e32 v12, s17
	s_waitcnt vmcnt(0)
	v_readfirstlane_b32 s18, v2
	v_readfirstlane_b32 s19, v3
	s_and_b64 s[18:19], s[18:19], s[16:17]
	s_mul_i32 s19, s19, 24
	s_mul_hi_u32 s22, s18, 24
	s_mul_i32 s18, s18, 24
	s_add_i32 s22, s22, s19
	v_add_co_u32 v9, vcc_lo, v25, s18
	v_add_co_ci_u32_e32 v10, vcc_lo, s22, v26, vcc_lo
	s_mov_b32 s18, exec_lo
	global_store_dwordx2 v[9:10], v[13:14], off
	s_waitcnt_vscnt null, 0x0
	global_atomic_cmpswap_x2 v[4:5], v6, v[11:14], s[26:27] offset:32 glc
	s_waitcnt vmcnt(0)
	v_cmpx_ne_u64_e64 v[4:5], v[13:14]
	s_cbranch_execz .LBB4_901
; %bb.899:                              ;   in Loop: Header=BB4_840 Depth=1
	s_mov_b32 s19, 0
.LBB4_900:                              ;   Parent Loop BB4_840 Depth=1
                                        ; =>  This Inner Loop Header: Depth=2
	v_mov_b32_e32 v2, s16
	v_mov_b32_e32 v3, s17
	s_sleep 1
	global_store_dwordx2 v[9:10], v[4:5], off
	s_waitcnt_vscnt null, 0x0
	global_atomic_cmpswap_x2 v[2:3], v6, v[2:5], s[26:27] offset:32 glc
	s_waitcnt vmcnt(0)
	v_cmp_eq_u64_e32 vcc_lo, v[2:3], v[4:5]
	v_mov_b32_e32 v5, v3
	v_mov_b32_e32 v4, v2
	s_or_b32 s19, vcc_lo, s19
	s_andn2_b32 exec_lo, exec_lo, s19
	s_cbranch_execnz .LBB4_900
.LBB4_901:                              ;   in Loop: Header=BB4_840 Depth=1
	s_or_b32 exec_lo, exec_lo, s18
	global_load_dwordx2 v[2:3], v6, s[26:27] offset:16
	s_mov_b32 s19, exec_lo
	s_mov_b32 s18, exec_lo
	v_mbcnt_lo_u32_b32 v4, s19, 0
	v_cmpx_eq_u32_e32 0, v4
	s_cbranch_execz .LBB4_903
; %bb.902:                              ;   in Loop: Header=BB4_840 Depth=1
	s_bcnt1_i32_b32 s19, s19
	v_mov_b32_e32 v5, s19
	s_waitcnt vmcnt(0)
	global_atomic_add_x2 v[2:3], v[5:6], off offset:8
.LBB4_903:                              ;   in Loop: Header=BB4_840 Depth=1
	s_or_b32 exec_lo, exec_lo, s18
	s_waitcnt vmcnt(0)
	global_load_dwordx2 v[9:10], v[2:3], off offset:16
	s_waitcnt vmcnt(0)
	v_cmp_eq_u64_e32 vcc_lo, 0, v[9:10]
	s_cbranch_vccnz .LBB4_905
; %bb.904:                              ;   in Loop: Header=BB4_840 Depth=1
	global_load_dword v5, v[2:3], off offset:24
	s_waitcnt vmcnt(0)
	v_and_b32_e32 v2, 0x7fffff, v5
	s_waitcnt_vscnt null, 0x0
	global_store_dwordx2 v[9:10], v[5:6], off
	v_readfirstlane_b32 m0, v2
	s_sendmsg sendmsg(MSG_INTERRUPT)
.LBB4_905:                              ;   in Loop: Header=BB4_840 Depth=1
	s_or_b32 exec_lo, exec_lo, s5
	v_add_co_u32 v2, vcc_lo, v27, v36
	v_add_co_ci_u32_e32 v3, vcc_lo, 0, v28, vcc_lo
	s_branch .LBB4_909
	.p2align	6
.LBB4_906:                              ;   in Loop: Header=BB4_909 Depth=2
	s_or_b32 exec_lo, exec_lo, s5
	v_readfirstlane_b32 s5, v4
	s_cmp_eq_u32 s5, 0
	s_cbranch_scc1 .LBB4_908
; %bb.907:                              ;   in Loop: Header=BB4_909 Depth=2
	s_sleep 1
	s_cbranch_execnz .LBB4_909
	s_branch .LBB4_911
	.p2align	6
.LBB4_908:                              ;   in Loop: Header=BB4_840 Depth=1
	s_branch .LBB4_911
.LBB4_909:                              ;   Parent Loop BB4_840 Depth=1
                                        ; =>  This Inner Loop Header: Depth=2
	v_mov_b32_e32 v4, 1
	s_and_saveexec_b32 s5, s4
	s_cbranch_execz .LBB4_906
; %bb.910:                              ;   in Loop: Header=BB4_909 Depth=2
	global_load_dword v4, v[29:30], off offset:20 glc dlc
	s_waitcnt vmcnt(0)
	buffer_gl1_inv
	buffer_gl0_inv
	v_and_b32_e32 v4, 1, v4
	s_branch .LBB4_906
.LBB4_911:                              ;   in Loop: Header=BB4_840 Depth=1
	global_load_dwordx4 v[2:5], v[2:3], off
	s_and_saveexec_b32 s5, s4
	s_cbranch_execz .LBB4_839
; %bb.912:                              ;   in Loop: Header=BB4_840 Depth=1
	s_clause 0x2
	global_load_dwordx2 v[4:5], v6, s[26:27] offset:40
	global_load_dwordx2 v[13:14], v6, s[26:27] offset:24 glc dlc
	global_load_dwordx2 v[11:12], v6, s[26:27]
	s_waitcnt vmcnt(2)
	v_add_co_u32 v15, vcc_lo, v4, 1
	v_add_co_ci_u32_e32 v16, vcc_lo, 0, v5, vcc_lo
	v_add_co_u32 v9, vcc_lo, v15, s16
	v_add_co_ci_u32_e32 v10, vcc_lo, s17, v16, vcc_lo
	v_cmp_eq_u64_e32 vcc_lo, 0, v[9:10]
	v_cndmask_b32_e32 v10, v10, v16, vcc_lo
	v_cndmask_b32_e32 v9, v9, v15, vcc_lo
	v_and_b32_e32 v5, v10, v5
	v_and_b32_e32 v4, v9, v4
	v_mul_lo_u32 v5, v5, 24
	v_mul_hi_u32 v15, v4, 24
	v_mul_lo_u32 v4, v4, 24
	v_add_nc_u32_e32 v5, v15, v5
	s_waitcnt vmcnt(0)
	v_add_co_u32 v4, vcc_lo, v11, v4
	v_mov_b32_e32 v11, v13
	v_add_co_ci_u32_e32 v5, vcc_lo, v12, v5, vcc_lo
	v_mov_b32_e32 v12, v14
	global_store_dwordx2 v[4:5], v[13:14], off
	s_waitcnt_vscnt null, 0x0
	global_atomic_cmpswap_x2 v[11:12], v6, v[9:12], s[26:27] offset:24 glc
	s_waitcnt vmcnt(0)
	v_cmp_ne_u64_e32 vcc_lo, v[11:12], v[13:14]
	s_and_b32 exec_lo, exec_lo, vcc_lo
	s_cbranch_execz .LBB4_839
; %bb.913:                              ;   in Loop: Header=BB4_840 Depth=1
	s_mov_b32 s4, 0
.LBB4_914:                              ;   Parent Loop BB4_840 Depth=1
                                        ; =>  This Inner Loop Header: Depth=2
	s_sleep 1
	global_store_dwordx2 v[4:5], v[11:12], off
	s_waitcnt_vscnt null, 0x0
	global_atomic_cmpswap_x2 v[13:14], v6, v[9:12], s[26:27] offset:24 glc
	s_waitcnt vmcnt(0)
	v_cmp_eq_u64_e32 vcc_lo, v[13:14], v[11:12]
	v_mov_b32_e32 v11, v13
	v_mov_b32_e32 v12, v14
	s_or_b32 s4, vcc_lo, s4
	s_andn2_b32 exec_lo, exec_lo, s4
	s_cbranch_execnz .LBB4_914
	s_branch .LBB4_839
.LBB4_915:
	s_branch .LBB4_944
.LBB4_916:
                                        ; implicit-def: $vgpr2_vgpr3
	s_cbranch_execz .LBB4_944
; %bb.917:
	v_readfirstlane_b32 s4, v37
	v_mov_b32_e32 v8, 0
	v_mov_b32_e32 v9, 0
	v_cmp_eq_u32_e64 s4, s4, v37
	s_and_saveexec_b32 s5, s4
	s_cbranch_execz .LBB4_923
; %bb.918:
	s_waitcnt vmcnt(0)
	v_mov_b32_e32 v2, 0
	s_mov_b32 s8, exec_lo
	global_load_dwordx2 v[5:6], v2, s[26:27] offset:24 glc dlc
	s_waitcnt vmcnt(0)
	buffer_gl1_inv
	buffer_gl0_inv
	s_clause 0x1
	global_load_dwordx2 v[3:4], v2, s[26:27] offset:40
	global_load_dwordx2 v[7:8], v2, s[26:27]
	s_waitcnt vmcnt(1)
	v_and_b32_e32 v4, v4, v6
	v_and_b32_e32 v3, v3, v5
	v_mul_lo_u32 v4, v4, 24
	v_mul_hi_u32 v9, v3, 24
	v_mul_lo_u32 v3, v3, 24
	v_add_nc_u32_e32 v4, v9, v4
	s_waitcnt vmcnt(0)
	v_add_co_u32 v3, vcc_lo, v7, v3
	v_add_co_ci_u32_e32 v4, vcc_lo, v8, v4, vcc_lo
	global_load_dwordx2 v[3:4], v[3:4], off glc dlc
	s_waitcnt vmcnt(0)
	global_atomic_cmpswap_x2 v[8:9], v2, v[3:6], s[26:27] offset:24 glc
	s_waitcnt vmcnt(0)
	buffer_gl1_inv
	buffer_gl0_inv
	v_cmpx_ne_u64_e64 v[8:9], v[5:6]
	s_cbranch_execz .LBB4_922
; %bb.919:
	s_mov_b32 s9, 0
.LBB4_920:                              ; =>This Inner Loop Header: Depth=1
	s_sleep 1
	s_clause 0x1
	global_load_dwordx2 v[3:4], v2, s[26:27] offset:40
	global_load_dwordx2 v[10:11], v2, s[26:27]
	v_mov_b32_e32 v5, v8
	v_mov_b32_e32 v6, v9
	s_waitcnt vmcnt(1)
	v_and_b32_e32 v3, v3, v5
	v_and_b32_e32 v4, v4, v6
	s_waitcnt vmcnt(0)
	v_mad_u64_u32 v[7:8], null, v3, 24, v[10:11]
	v_mov_b32_e32 v3, v8
	v_mad_u64_u32 v[3:4], null, v4, 24, v[3:4]
	v_mov_b32_e32 v8, v3
	global_load_dwordx2 v[3:4], v[7:8], off glc dlc
	s_waitcnt vmcnt(0)
	global_atomic_cmpswap_x2 v[8:9], v2, v[3:6], s[26:27] offset:24 glc
	s_waitcnt vmcnt(0)
	buffer_gl1_inv
	buffer_gl0_inv
	v_cmp_eq_u64_e32 vcc_lo, v[8:9], v[5:6]
	s_or_b32 s9, vcc_lo, s9
	s_andn2_b32 exec_lo, exec_lo, s9
	s_cbranch_execnz .LBB4_920
; %bb.921:
	s_or_b32 exec_lo, exec_lo, s9
.LBB4_922:
	s_or_b32 exec_lo, exec_lo, s8
.LBB4_923:
	s_or_b32 exec_lo, exec_lo, s5
	s_waitcnt vmcnt(0)
	v_mov_b32_e32 v2, 0
	v_readfirstlane_b32 s8, v8
	v_readfirstlane_b32 s9, v9
	s_mov_b32 s5, exec_lo
	s_clause 0x1
	global_load_dwordx2 v[10:11], v2, s[26:27] offset:40
	global_load_dwordx4 v[4:7], v2, s[26:27]
	s_waitcnt vmcnt(1)
	v_readfirstlane_b32 s12, v10
	v_readfirstlane_b32 s13, v11
	s_and_b64 s[12:13], s[8:9], s[12:13]
	s_mul_i32 s14, s13, 24
	s_mul_hi_u32 s15, s12, 24
	s_mul_i32 s16, s12, 24
	s_add_i32 s15, s15, s14
	s_waitcnt vmcnt(0)
	v_add_co_u32 v8, vcc_lo, v4, s16
	v_add_co_ci_u32_e32 v9, vcc_lo, s15, v5, vcc_lo
	s_and_saveexec_b32 s14, s4
	s_cbranch_execz .LBB4_925
; %bb.924:
	v_mov_b32_e32 v10, s5
	v_mov_b32_e32 v11, v2
	v_mov_b32_e32 v12, 2
	v_mov_b32_e32 v13, 1
	global_store_dwordx4 v[8:9], v[10:13], off offset:8
.LBB4_925:
	s_or_b32 exec_lo, exec_lo, s14
	s_lshl_b64 s[12:13], s[12:13], 12
	v_and_or_b32 v0, 0xffffff1f, v0, 32
	v_add_co_u32 v6, vcc_lo, v6, s12
	v_add_co_ci_u32_e32 v7, vcc_lo, s13, v7, vcc_lo
	s_mov_b32 s12, 0
	v_readfirstlane_b32 s16, v6
	v_add_co_u32 v6, vcc_lo, v6, v36
	s_mov_b32 s13, s12
	s_mov_b32 s14, s12
	;; [unrolled: 1-line block ×3, first 2 shown]
	v_mov_b32_e32 v3, v2
	v_readfirstlane_b32 s17, v7
	v_mov_b32_e32 v10, s12
	v_add_co_ci_u32_e32 v7, vcc_lo, 0, v7, vcc_lo
	v_mov_b32_e32 v11, s13
	v_mov_b32_e32 v12, s14
	;; [unrolled: 1-line block ×3, first 2 shown]
	global_store_dwordx4 v36, v[0:3], s[16:17]
	global_store_dwordx4 v36, v[10:13], s[16:17] offset:16
	global_store_dwordx4 v36, v[10:13], s[16:17] offset:32
	;; [unrolled: 1-line block ×3, first 2 shown]
	s_and_saveexec_b32 s5, s4
	s_cbranch_execz .LBB4_933
; %bb.926:
	v_mov_b32_e32 v10, 0
	v_mov_b32_e32 v11, s8
	;; [unrolled: 1-line block ×3, first 2 shown]
	s_clause 0x1
	global_load_dwordx2 v[13:14], v10, s[26:27] offset:32 glc dlc
	global_load_dwordx2 v[0:1], v10, s[26:27] offset:40
	s_waitcnt vmcnt(0)
	v_readfirstlane_b32 s12, v0
	v_readfirstlane_b32 s13, v1
	s_and_b64 s[12:13], s[12:13], s[8:9]
	s_mul_i32 s13, s13, 24
	s_mul_hi_u32 s14, s12, 24
	s_mul_i32 s12, s12, 24
	s_add_i32 s14, s14, s13
	v_add_co_u32 v4, vcc_lo, v4, s12
	v_add_co_ci_u32_e32 v5, vcc_lo, s14, v5, vcc_lo
	s_mov_b32 s12, exec_lo
	global_store_dwordx2 v[4:5], v[13:14], off
	s_waitcnt_vscnt null, 0x0
	global_atomic_cmpswap_x2 v[2:3], v10, v[11:14], s[26:27] offset:32 glc
	s_waitcnt vmcnt(0)
	v_cmpx_ne_u64_e64 v[2:3], v[13:14]
	s_cbranch_execz .LBB4_929
; %bb.927:
	s_mov_b32 s13, 0
.LBB4_928:                              ; =>This Inner Loop Header: Depth=1
	v_mov_b32_e32 v0, s8
	v_mov_b32_e32 v1, s9
	s_sleep 1
	global_store_dwordx2 v[4:5], v[2:3], off
	s_waitcnt_vscnt null, 0x0
	global_atomic_cmpswap_x2 v[0:1], v10, v[0:3], s[26:27] offset:32 glc
	s_waitcnt vmcnt(0)
	v_cmp_eq_u64_e32 vcc_lo, v[0:1], v[2:3]
	v_mov_b32_e32 v3, v1
	v_mov_b32_e32 v2, v0
	s_or_b32 s13, vcc_lo, s13
	s_andn2_b32 exec_lo, exec_lo, s13
	s_cbranch_execnz .LBB4_928
.LBB4_929:
	s_or_b32 exec_lo, exec_lo, s12
	v_mov_b32_e32 v3, 0
	s_mov_b32 s13, exec_lo
	s_mov_b32 s12, exec_lo
	v_mbcnt_lo_u32_b32 v2, s13, 0
	global_load_dwordx2 v[0:1], v3, s[26:27] offset:16
	v_cmpx_eq_u32_e32 0, v2
	s_cbranch_execz .LBB4_931
; %bb.930:
	s_bcnt1_i32_b32 s13, s13
	v_mov_b32_e32 v2, s13
	s_waitcnt vmcnt(0)
	global_atomic_add_x2 v[0:1], v[2:3], off offset:8
.LBB4_931:
	s_or_b32 exec_lo, exec_lo, s12
	s_waitcnt vmcnt(0)
	global_load_dwordx2 v[2:3], v[0:1], off offset:16
	s_waitcnt vmcnt(0)
	v_cmp_eq_u64_e32 vcc_lo, 0, v[2:3]
	s_cbranch_vccnz .LBB4_933
; %bb.932:
	global_load_dword v0, v[0:1], off offset:24
	v_mov_b32_e32 v1, 0
	s_waitcnt vmcnt(0)
	v_and_b32_e32 v4, 0x7fffff, v0
	s_waitcnt_vscnt null, 0x0
	global_store_dwordx2 v[2:3], v[0:1], off
	v_readfirstlane_b32 m0, v4
	s_sendmsg sendmsg(MSG_INTERRUPT)
.LBB4_933:
	s_or_b32 exec_lo, exec_lo, s5
	s_branch .LBB4_937
	.p2align	6
.LBB4_934:                              ;   in Loop: Header=BB4_937 Depth=1
	s_or_b32 exec_lo, exec_lo, s5
	v_readfirstlane_b32 s5, v0
	s_cmp_eq_u32 s5, 0
	s_cbranch_scc1 .LBB4_936
; %bb.935:                              ;   in Loop: Header=BB4_937 Depth=1
	s_sleep 1
	s_cbranch_execnz .LBB4_937
	s_branch .LBB4_939
	.p2align	6
.LBB4_936:
	s_branch .LBB4_939
.LBB4_937:                              ; =>This Inner Loop Header: Depth=1
	v_mov_b32_e32 v0, 1
	s_and_saveexec_b32 s5, s4
	s_cbranch_execz .LBB4_934
; %bb.938:                              ;   in Loop: Header=BB4_937 Depth=1
	global_load_dword v0, v[8:9], off offset:20 glc dlc
	s_waitcnt vmcnt(0)
	buffer_gl1_inv
	buffer_gl0_inv
	v_and_b32_e32 v0, 1, v0
	s_branch .LBB4_934
.LBB4_939:
	global_load_dwordx2 v[2:3], v[6:7], off
	s_and_saveexec_b32 s5, s4
	s_cbranch_execz .LBB4_943
; %bb.940:
	v_mov_b32_e32 v8, 0
	s_clause 0x2
	global_load_dwordx2 v[0:1], v8, s[26:27] offset:40
	global_load_dwordx2 v[9:10], v8, s[26:27] offset:24 glc dlc
	global_load_dwordx2 v[6:7], v8, s[26:27]
	s_waitcnt vmcnt(2)
	v_add_co_u32 v11, vcc_lo, v0, 1
	v_add_co_ci_u32_e32 v12, vcc_lo, 0, v1, vcc_lo
	v_add_co_u32 v4, vcc_lo, v11, s8
	v_add_co_ci_u32_e32 v5, vcc_lo, s9, v12, vcc_lo
	v_cmp_eq_u64_e32 vcc_lo, 0, v[4:5]
	v_cndmask_b32_e32 v5, v5, v12, vcc_lo
	v_cndmask_b32_e32 v4, v4, v11, vcc_lo
	v_and_b32_e32 v1, v5, v1
	v_and_b32_e32 v0, v4, v0
	v_mul_lo_u32 v1, v1, 24
	v_mul_hi_u32 v11, v0, 24
	v_mul_lo_u32 v0, v0, 24
	v_add_nc_u32_e32 v1, v11, v1
	s_waitcnt vmcnt(0)
	v_add_co_u32 v0, vcc_lo, v6, v0
	v_mov_b32_e32 v6, v9
	v_add_co_ci_u32_e32 v1, vcc_lo, v7, v1, vcc_lo
	v_mov_b32_e32 v7, v10
	global_store_dwordx2 v[0:1], v[9:10], off
	s_waitcnt_vscnt null, 0x0
	global_atomic_cmpswap_x2 v[6:7], v8, v[4:7], s[26:27] offset:24 glc
	s_waitcnt vmcnt(0)
	v_cmp_ne_u64_e32 vcc_lo, v[6:7], v[9:10]
	s_and_b32 exec_lo, exec_lo, vcc_lo
	s_cbranch_execz .LBB4_943
; %bb.941:
	s_mov_b32 s4, 0
.LBB4_942:                              ; =>This Inner Loop Header: Depth=1
	s_sleep 1
	global_store_dwordx2 v[0:1], v[6:7], off
	s_waitcnt_vscnt null, 0x0
	global_atomic_cmpswap_x2 v[9:10], v8, v[4:7], s[26:27] offset:24 glc
	s_waitcnt vmcnt(0)
	v_cmp_eq_u64_e32 vcc_lo, v[9:10], v[6:7]
	v_mov_b32_e32 v6, v9
	v_mov_b32_e32 v7, v10
	s_or_b32 s4, vcc_lo, s4
	s_andn2_b32 exec_lo, exec_lo, s4
	s_cbranch_execnz .LBB4_942
.LBB4_943:
	s_or_b32 exec_lo, exec_lo, s5
.LBB4_944:
	v_readfirstlane_b32 s4, v37
	s_waitcnt vmcnt(0)
	v_mov_b32_e32 v0, 0
	v_mov_b32_e32 v1, 0
	v_cmp_eq_u32_e64 s4, s4, v37
	s_and_saveexec_b32 s5, s4
	s_cbranch_execz .LBB4_950
; %bb.945:
	v_mov_b32_e32 v4, 0
	s_mov_b32 s8, exec_lo
	global_load_dwordx2 v[7:8], v4, s[26:27] offset:24 glc dlc
	s_waitcnt vmcnt(0)
	buffer_gl1_inv
	buffer_gl0_inv
	s_clause 0x1
	global_load_dwordx2 v[0:1], v4, s[26:27] offset:40
	global_load_dwordx2 v[5:6], v4, s[26:27]
	s_waitcnt vmcnt(1)
	v_and_b32_e32 v1, v1, v8
	v_and_b32_e32 v0, v0, v7
	v_mul_lo_u32 v1, v1, 24
	v_mul_hi_u32 v9, v0, 24
	v_mul_lo_u32 v0, v0, 24
	v_add_nc_u32_e32 v1, v9, v1
	s_waitcnt vmcnt(0)
	v_add_co_u32 v0, vcc_lo, v5, v0
	v_add_co_ci_u32_e32 v1, vcc_lo, v6, v1, vcc_lo
	global_load_dwordx2 v[5:6], v[0:1], off glc dlc
	s_waitcnt vmcnt(0)
	global_atomic_cmpswap_x2 v[0:1], v4, v[5:8], s[26:27] offset:24 glc
	s_waitcnt vmcnt(0)
	buffer_gl1_inv
	buffer_gl0_inv
	v_cmpx_ne_u64_e64 v[0:1], v[7:8]
	s_cbranch_execz .LBB4_949
; %bb.946:
	s_mov_b32 s9, 0
	.p2align	6
.LBB4_947:                              ; =>This Inner Loop Header: Depth=1
	s_sleep 1
	s_clause 0x1
	global_load_dwordx2 v[5:6], v4, s[26:27] offset:40
	global_load_dwordx2 v[9:10], v4, s[26:27]
	v_mov_b32_e32 v8, v1
	v_mov_b32_e32 v7, v0
	s_waitcnt vmcnt(1)
	v_and_b32_e32 v0, v5, v7
	v_and_b32_e32 v5, v6, v8
	s_waitcnt vmcnt(0)
	v_mad_u64_u32 v[0:1], null, v0, 24, v[9:10]
	v_mad_u64_u32 v[5:6], null, v5, 24, v[1:2]
	v_mov_b32_e32 v1, v5
	global_load_dwordx2 v[5:6], v[0:1], off glc dlc
	s_waitcnt vmcnt(0)
	global_atomic_cmpswap_x2 v[0:1], v4, v[5:8], s[26:27] offset:24 glc
	s_waitcnt vmcnt(0)
	buffer_gl1_inv
	buffer_gl0_inv
	v_cmp_eq_u64_e32 vcc_lo, v[0:1], v[7:8]
	s_or_b32 s9, vcc_lo, s9
	s_andn2_b32 exec_lo, exec_lo, s9
	s_cbranch_execnz .LBB4_947
; %bb.948:
	s_or_b32 exec_lo, exec_lo, s9
.LBB4_949:
	s_or_b32 exec_lo, exec_lo, s8
.LBB4_950:
	s_or_b32 exec_lo, exec_lo, s5
	v_mov_b32_e32 v5, 0
	v_readfirstlane_b32 s8, v0
	v_readfirstlane_b32 s9, v1
	s_mov_b32 s5, exec_lo
	s_clause 0x1
	global_load_dwordx2 v[10:11], v5, s[26:27] offset:40
	global_load_dwordx4 v[6:9], v5, s[26:27]
	s_waitcnt vmcnt(1)
	v_readfirstlane_b32 s12, v10
	v_readfirstlane_b32 s13, v11
	s_and_b64 s[12:13], s[8:9], s[12:13]
	s_mul_i32 s14, s13, 24
	s_mul_hi_u32 s15, s12, 24
	s_mul_i32 s16, s12, 24
	s_add_i32 s15, s15, s14
	s_waitcnt vmcnt(0)
	v_add_co_u32 v10, vcc_lo, v6, s16
	v_add_co_ci_u32_e32 v11, vcc_lo, s15, v7, vcc_lo
	s_and_saveexec_b32 s14, s4
	s_cbranch_execz .LBB4_952
; %bb.951:
	v_mov_b32_e32 v4, s5
	v_mov_b32_e32 v13, v5
	;; [unrolled: 1-line block ×5, first 2 shown]
	global_store_dwordx4 v[10:11], v[12:15], off offset:8
.LBB4_952:
	s_or_b32 exec_lo, exec_lo, s14
	s_lshl_b64 s[12:13], s[12:13], 12
	v_and_or_b32 v2, 0xffffff1d, v2, 34
	v_add_co_u32 v0, vcc_lo, v8, s12
	v_add_co_ci_u32_e32 v1, vcc_lo, s13, v9, vcc_lo
	s_mov_b32 s12, 0
	v_mov_b32_e32 v4, 0x25d
	s_mov_b32 s13, s12
	s_mov_b32 s14, s12
	;; [unrolled: 1-line block ×3, first 2 shown]
	v_readfirstlane_b32 s16, v0
	v_readfirstlane_b32 s17, v1
	v_mov_b32_e32 v12, s12
	v_mov_b32_e32 v13, s13
	v_mov_b32_e32 v14, s14
	v_mov_b32_e32 v15, s15
	global_store_dwordx4 v36, v[2:5], s[16:17]
	global_store_dwordx4 v36, v[12:15], s[16:17] offset:16
	global_store_dwordx4 v36, v[12:15], s[16:17] offset:32
	;; [unrolled: 1-line block ×3, first 2 shown]
	s_and_saveexec_b32 s5, s4
	s_cbranch_execz .LBB4_960
; %bb.953:
	v_mov_b32_e32 v8, 0
	v_mov_b32_e32 v12, s8
	;; [unrolled: 1-line block ×3, first 2 shown]
	s_clause 0x1
	global_load_dwordx2 v[14:15], v8, s[26:27] offset:32 glc dlc
	global_load_dwordx2 v[0:1], v8, s[26:27] offset:40
	s_waitcnt vmcnt(0)
	v_readfirstlane_b32 s12, v0
	v_readfirstlane_b32 s13, v1
	s_and_b64 s[12:13], s[12:13], s[8:9]
	s_mul_i32 s13, s13, 24
	s_mul_hi_u32 s14, s12, 24
	s_mul_i32 s12, s12, 24
	s_add_i32 s14, s14, s13
	v_add_co_u32 v4, vcc_lo, v6, s12
	v_add_co_ci_u32_e32 v5, vcc_lo, s14, v7, vcc_lo
	s_mov_b32 s12, exec_lo
	global_store_dwordx2 v[4:5], v[14:15], off
	s_waitcnt_vscnt null, 0x0
	global_atomic_cmpswap_x2 v[2:3], v8, v[12:15], s[26:27] offset:32 glc
	s_waitcnt vmcnt(0)
	v_cmpx_ne_u64_e64 v[2:3], v[14:15]
	s_cbranch_execz .LBB4_956
; %bb.954:
	s_mov_b32 s13, 0
.LBB4_955:                              ; =>This Inner Loop Header: Depth=1
	v_mov_b32_e32 v0, s8
	v_mov_b32_e32 v1, s9
	s_sleep 1
	global_store_dwordx2 v[4:5], v[2:3], off
	s_waitcnt_vscnt null, 0x0
	global_atomic_cmpswap_x2 v[0:1], v8, v[0:3], s[26:27] offset:32 glc
	s_waitcnt vmcnt(0)
	v_cmp_eq_u64_e32 vcc_lo, v[0:1], v[2:3]
	v_mov_b32_e32 v3, v1
	v_mov_b32_e32 v2, v0
	s_or_b32 s13, vcc_lo, s13
	s_andn2_b32 exec_lo, exec_lo, s13
	s_cbranch_execnz .LBB4_955
.LBB4_956:
	s_or_b32 exec_lo, exec_lo, s12
	v_mov_b32_e32 v3, 0
	s_mov_b32 s13, exec_lo
	s_mov_b32 s12, exec_lo
	v_mbcnt_lo_u32_b32 v2, s13, 0
	global_load_dwordx2 v[0:1], v3, s[26:27] offset:16
	v_cmpx_eq_u32_e32 0, v2
	s_cbranch_execz .LBB4_958
; %bb.957:
	s_bcnt1_i32_b32 s13, s13
	v_mov_b32_e32 v2, s13
	s_waitcnt vmcnt(0)
	global_atomic_add_x2 v[0:1], v[2:3], off offset:8
.LBB4_958:
	s_or_b32 exec_lo, exec_lo, s12
	s_waitcnt vmcnt(0)
	global_load_dwordx2 v[2:3], v[0:1], off offset:16
	s_waitcnt vmcnt(0)
	v_cmp_eq_u64_e32 vcc_lo, 0, v[2:3]
	s_cbranch_vccnz .LBB4_960
; %bb.959:
	global_load_dword v0, v[0:1], off offset:24
	v_mov_b32_e32 v1, 0
	s_waitcnt vmcnt(0)
	v_and_b32_e32 v4, 0x7fffff, v0
	s_waitcnt_vscnt null, 0x0
	global_store_dwordx2 v[2:3], v[0:1], off
	v_readfirstlane_b32 m0, v4
	s_sendmsg sendmsg(MSG_INTERRUPT)
.LBB4_960:
	s_or_b32 exec_lo, exec_lo, s5
	s_branch .LBB4_964
	.p2align	6
.LBB4_961:                              ;   in Loop: Header=BB4_964 Depth=1
	s_or_b32 exec_lo, exec_lo, s5
	v_readfirstlane_b32 s5, v0
	s_cmp_eq_u32 s5, 0
	s_cbranch_scc1 .LBB4_963
; %bb.962:                              ;   in Loop: Header=BB4_964 Depth=1
	s_sleep 1
	s_cbranch_execnz .LBB4_964
	s_branch .LBB4_966
	.p2align	6
.LBB4_963:
	s_branch .LBB4_966
.LBB4_964:                              ; =>This Inner Loop Header: Depth=1
	v_mov_b32_e32 v0, 1
	s_and_saveexec_b32 s5, s4
	s_cbranch_execz .LBB4_961
; %bb.965:                              ;   in Loop: Header=BB4_964 Depth=1
	global_load_dword v0, v[10:11], off offset:20 glc dlc
	s_waitcnt vmcnt(0)
	buffer_gl1_inv
	buffer_gl0_inv
	v_and_b32_e32 v0, 1, v0
	s_branch .LBB4_961
.LBB4_966:
	s_and_saveexec_b32 s5, s4
	s_cbranch_execz .LBB4_970
; %bb.967:
	v_mov_b32_e32 v6, 0
	s_clause 0x2
	global_load_dwordx2 v[2:3], v6, s[26:27] offset:40
	global_load_dwordx2 v[7:8], v6, s[26:27] offset:24 glc dlc
	global_load_dwordx2 v[4:5], v6, s[26:27]
	s_waitcnt vmcnt(2)
	v_add_co_u32 v9, vcc_lo, v2, 1
	v_add_co_ci_u32_e32 v10, vcc_lo, 0, v3, vcc_lo
	v_add_co_u32 v0, vcc_lo, v9, s8
	v_add_co_ci_u32_e32 v1, vcc_lo, s9, v10, vcc_lo
	v_cmp_eq_u64_e32 vcc_lo, 0, v[0:1]
	v_cndmask_b32_e32 v1, v1, v10, vcc_lo
	v_cndmask_b32_e32 v0, v0, v9, vcc_lo
	v_and_b32_e32 v3, v1, v3
	v_and_b32_e32 v2, v0, v2
	v_mul_lo_u32 v3, v3, 24
	v_mul_hi_u32 v9, v2, 24
	v_mul_lo_u32 v2, v2, 24
	v_add_nc_u32_e32 v3, v9, v3
	s_waitcnt vmcnt(0)
	v_add_co_u32 v4, vcc_lo, v4, v2
	v_mov_b32_e32 v2, v7
	v_add_co_ci_u32_e32 v5, vcc_lo, v5, v3, vcc_lo
	v_mov_b32_e32 v3, v8
	global_store_dwordx2 v[4:5], v[7:8], off
	s_waitcnt_vscnt null, 0x0
	global_atomic_cmpswap_x2 v[2:3], v6, v[0:3], s[26:27] offset:24 glc
	s_waitcnt vmcnt(0)
	v_cmp_ne_u64_e32 vcc_lo, v[2:3], v[7:8]
	s_and_b32 exec_lo, exec_lo, vcc_lo
	s_cbranch_execz .LBB4_970
; %bb.968:
	s_mov_b32 s4, 0
.LBB4_969:                              ; =>This Inner Loop Header: Depth=1
	s_sleep 1
	global_store_dwordx2 v[4:5], v[2:3], off
	s_waitcnt_vscnt null, 0x0
	global_atomic_cmpswap_x2 v[7:8], v6, v[0:3], s[26:27] offset:24 glc
	s_waitcnt vmcnt(0)
	v_cmp_eq_u64_e32 vcc_lo, v[7:8], v[2:3]
	v_mov_b32_e32 v2, v7
	v_mov_b32_e32 v3, v8
	s_or_b32 s4, vcc_lo, s4
	s_andn2_b32 exec_lo, exec_lo, s4
	s_cbranch_execnz .LBB4_969
.LBB4_970:
	s_or_b32 exec_lo, exec_lo, s5
	v_readfirstlane_b32 s4, v37
	v_mov_b32_e32 v6, 0
	v_mov_b32_e32 v7, 0
	v_cmp_eq_u32_e64 s4, s4, v37
	s_and_saveexec_b32 s5, s4
	s_cbranch_execz .LBB4_976
; %bb.971:
	v_mov_b32_e32 v0, 0
	s_mov_b32 s8, exec_lo
	global_load_dwordx2 v[3:4], v0, s[26:27] offset:24 glc dlc
	s_waitcnt vmcnt(0)
	buffer_gl1_inv
	buffer_gl0_inv
	s_clause 0x1
	global_load_dwordx2 v[1:2], v0, s[26:27] offset:40
	global_load_dwordx2 v[5:6], v0, s[26:27]
	s_waitcnt vmcnt(1)
	v_and_b32_e32 v2, v2, v4
	v_and_b32_e32 v1, v1, v3
	v_mul_lo_u32 v2, v2, 24
	v_mul_hi_u32 v7, v1, 24
	v_mul_lo_u32 v1, v1, 24
	v_add_nc_u32_e32 v2, v7, v2
	s_waitcnt vmcnt(0)
	v_add_co_u32 v1, vcc_lo, v5, v1
	v_add_co_ci_u32_e32 v2, vcc_lo, v6, v2, vcc_lo
	global_load_dwordx2 v[1:2], v[1:2], off glc dlc
	s_waitcnt vmcnt(0)
	global_atomic_cmpswap_x2 v[6:7], v0, v[1:4], s[26:27] offset:24 glc
	s_waitcnt vmcnt(0)
	buffer_gl1_inv
	buffer_gl0_inv
	v_cmpx_ne_u64_e64 v[6:7], v[3:4]
	s_cbranch_execz .LBB4_975
; %bb.972:
	s_mov_b32 s9, 0
	.p2align	6
.LBB4_973:                              ; =>This Inner Loop Header: Depth=1
	s_sleep 1
	s_clause 0x1
	global_load_dwordx2 v[1:2], v0, s[26:27] offset:40
	global_load_dwordx2 v[8:9], v0, s[26:27]
	v_mov_b32_e32 v3, v6
	v_mov_b32_e32 v4, v7
	s_waitcnt vmcnt(1)
	v_and_b32_e32 v1, v1, v3
	v_and_b32_e32 v2, v2, v4
	s_waitcnt vmcnt(0)
	v_mad_u64_u32 v[5:6], null, v1, 24, v[8:9]
	v_mov_b32_e32 v1, v6
	v_mad_u64_u32 v[1:2], null, v2, 24, v[1:2]
	v_mov_b32_e32 v6, v1
	global_load_dwordx2 v[1:2], v[5:6], off glc dlc
	s_waitcnt vmcnt(0)
	global_atomic_cmpswap_x2 v[6:7], v0, v[1:4], s[26:27] offset:24 glc
	s_waitcnt vmcnt(0)
	buffer_gl1_inv
	buffer_gl0_inv
	v_cmp_eq_u64_e32 vcc_lo, v[6:7], v[3:4]
	s_or_b32 s9, vcc_lo, s9
	s_andn2_b32 exec_lo, exec_lo, s9
	s_cbranch_execnz .LBB4_973
; %bb.974:
	s_or_b32 exec_lo, exec_lo, s9
.LBB4_975:
	s_or_b32 exec_lo, exec_lo, s8
.LBB4_976:
	s_or_b32 exec_lo, exec_lo, s5
	v_mov_b32_e32 v5, 0
	v_readfirstlane_b32 s8, v6
	v_readfirstlane_b32 s9, v7
	s_mov_b32 s5, exec_lo
	s_clause 0x1
	global_load_dwordx2 v[8:9], v5, s[26:27] offset:40
	global_load_dwordx4 v[0:3], v5, s[26:27]
	s_waitcnt vmcnt(1)
	v_readfirstlane_b32 s12, v8
	v_readfirstlane_b32 s13, v9
	s_and_b64 s[12:13], s[8:9], s[12:13]
	s_mul_i32 s14, s13, 24
	s_mul_hi_u32 s15, s12, 24
	s_mul_i32 s16, s12, 24
	s_add_i32 s15, s15, s14
	s_waitcnt vmcnt(0)
	v_add_co_u32 v8, vcc_lo, v0, s16
	v_add_co_ci_u32_e32 v9, vcc_lo, s15, v1, vcc_lo
	s_and_saveexec_b32 s14, s4
	s_cbranch_execz .LBB4_978
; %bb.977:
	v_mov_b32_e32 v4, s5
	v_mov_b32_e32 v6, 2
	;; [unrolled: 1-line block ×3, first 2 shown]
	global_store_dwordx4 v[8:9], v[4:7], off offset:8
.LBB4_978:
	s_or_b32 exec_lo, exec_lo, s14
	s_lshl_b64 s[12:13], s[12:13], 12
	v_mov_b32_e32 v4, 33
	v_add_co_u32 v2, vcc_lo, v2, s12
	v_add_co_ci_u32_e32 v3, vcc_lo, s13, v3, vcc_lo
	s_mov_b32 s12, 0
	v_add_co_u32 v10, vcc_lo, v2, v36
	s_mov_b32 s13, s12
	s_mov_b32 s14, s12
	;; [unrolled: 1-line block ×3, first 2 shown]
	v_mov_b32_e32 v6, v5
	v_mov_b32_e32 v7, v5
	v_readfirstlane_b32 s16, v2
	v_readfirstlane_b32 s17, v3
	v_mov_b32_e32 v12, s12
	v_add_co_ci_u32_e32 v11, vcc_lo, 0, v3, vcc_lo
	v_mov_b32_e32 v13, s13
	v_mov_b32_e32 v14, s14
	;; [unrolled: 1-line block ×3, first 2 shown]
	global_store_dwordx4 v36, v[4:7], s[16:17]
	global_store_dwordx4 v36, v[12:15], s[16:17] offset:16
	global_store_dwordx4 v36, v[12:15], s[16:17] offset:32
	;; [unrolled: 1-line block ×3, first 2 shown]
	s_and_saveexec_b32 s5, s4
	s_cbranch_execz .LBB4_986
; %bb.979:
	v_mov_b32_e32 v6, 0
	v_mov_b32_e32 v12, s8
	;; [unrolled: 1-line block ×3, first 2 shown]
	s_clause 0x1
	global_load_dwordx2 v[14:15], v6, s[26:27] offset:32 glc dlc
	global_load_dwordx2 v[2:3], v6, s[26:27] offset:40
	s_waitcnt vmcnt(0)
	v_readfirstlane_b32 s12, v2
	v_readfirstlane_b32 s13, v3
	s_and_b64 s[12:13], s[12:13], s[8:9]
	s_mul_i32 s13, s13, 24
	s_mul_hi_u32 s14, s12, 24
	s_mul_i32 s12, s12, 24
	s_add_i32 s14, s14, s13
	v_add_co_u32 v4, vcc_lo, v0, s12
	v_add_co_ci_u32_e32 v5, vcc_lo, s14, v1, vcc_lo
	s_mov_b32 s12, exec_lo
	global_store_dwordx2 v[4:5], v[14:15], off
	s_waitcnt_vscnt null, 0x0
	global_atomic_cmpswap_x2 v[2:3], v6, v[12:15], s[26:27] offset:32 glc
	s_waitcnt vmcnt(0)
	v_cmpx_ne_u64_e64 v[2:3], v[14:15]
	s_cbranch_execz .LBB4_982
; %bb.980:
	s_mov_b32 s13, 0
.LBB4_981:                              ; =>This Inner Loop Header: Depth=1
	v_mov_b32_e32 v0, s8
	v_mov_b32_e32 v1, s9
	s_sleep 1
	global_store_dwordx2 v[4:5], v[2:3], off
	s_waitcnt_vscnt null, 0x0
	global_atomic_cmpswap_x2 v[0:1], v6, v[0:3], s[26:27] offset:32 glc
	s_waitcnt vmcnt(0)
	v_cmp_eq_u64_e32 vcc_lo, v[0:1], v[2:3]
	v_mov_b32_e32 v3, v1
	v_mov_b32_e32 v2, v0
	s_or_b32 s13, vcc_lo, s13
	s_andn2_b32 exec_lo, exec_lo, s13
	s_cbranch_execnz .LBB4_981
.LBB4_982:
	s_or_b32 exec_lo, exec_lo, s12
	v_mov_b32_e32 v3, 0
	s_mov_b32 s13, exec_lo
	s_mov_b32 s12, exec_lo
	v_mbcnt_lo_u32_b32 v2, s13, 0
	global_load_dwordx2 v[0:1], v3, s[26:27] offset:16
	v_cmpx_eq_u32_e32 0, v2
	s_cbranch_execz .LBB4_984
; %bb.983:
	s_bcnt1_i32_b32 s13, s13
	v_mov_b32_e32 v2, s13
	s_waitcnt vmcnt(0)
	global_atomic_add_x2 v[0:1], v[2:3], off offset:8
.LBB4_984:
	s_or_b32 exec_lo, exec_lo, s12
	s_waitcnt vmcnt(0)
	global_load_dwordx2 v[2:3], v[0:1], off offset:16
	s_waitcnt vmcnt(0)
	v_cmp_eq_u64_e32 vcc_lo, 0, v[2:3]
	s_cbranch_vccnz .LBB4_986
; %bb.985:
	global_load_dword v0, v[0:1], off offset:24
	v_mov_b32_e32 v1, 0
	s_waitcnt vmcnt(0)
	v_and_b32_e32 v4, 0x7fffff, v0
	s_waitcnt_vscnt null, 0x0
	global_store_dwordx2 v[2:3], v[0:1], off
	v_readfirstlane_b32 m0, v4
	s_sendmsg sendmsg(MSG_INTERRUPT)
.LBB4_986:
	s_or_b32 exec_lo, exec_lo, s5
	s_branch .LBB4_990
	.p2align	6
.LBB4_987:                              ;   in Loop: Header=BB4_990 Depth=1
	s_or_b32 exec_lo, exec_lo, s5
	v_readfirstlane_b32 s5, v0
	s_cmp_eq_u32 s5, 0
	s_cbranch_scc1 .LBB4_989
; %bb.988:                              ;   in Loop: Header=BB4_990 Depth=1
	s_sleep 1
	s_cbranch_execnz .LBB4_990
	s_branch .LBB4_992
	.p2align	6
.LBB4_989:
	s_branch .LBB4_992
.LBB4_990:                              ; =>This Inner Loop Header: Depth=1
	v_mov_b32_e32 v0, 1
	s_and_saveexec_b32 s5, s4
	s_cbranch_execz .LBB4_987
; %bb.991:                              ;   in Loop: Header=BB4_990 Depth=1
	global_load_dword v0, v[8:9], off offset:20 glc dlc
	s_waitcnt vmcnt(0)
	buffer_gl1_inv
	buffer_gl0_inv
	v_and_b32_e32 v0, 1, v0
	s_branch .LBB4_987
.LBB4_992:
	global_load_dwordx2 v[0:1], v[10:11], off
	s_and_saveexec_b32 s5, s4
	s_cbranch_execz .LBB4_996
; %bb.993:
	v_mov_b32_e32 v8, 0
	s_clause 0x2
	global_load_dwordx2 v[4:5], v8, s[26:27] offset:40
	global_load_dwordx2 v[9:10], v8, s[26:27] offset:24 glc dlc
	global_load_dwordx2 v[6:7], v8, s[26:27]
	s_waitcnt vmcnt(2)
	v_add_co_u32 v11, vcc_lo, v4, 1
	v_add_co_ci_u32_e32 v12, vcc_lo, 0, v5, vcc_lo
	v_add_co_u32 v2, vcc_lo, v11, s8
	v_add_co_ci_u32_e32 v3, vcc_lo, s9, v12, vcc_lo
	v_cmp_eq_u64_e32 vcc_lo, 0, v[2:3]
	v_cndmask_b32_e32 v3, v3, v12, vcc_lo
	v_cndmask_b32_e32 v2, v2, v11, vcc_lo
	v_and_b32_e32 v5, v3, v5
	v_and_b32_e32 v4, v2, v4
	v_mul_lo_u32 v5, v5, 24
	v_mul_hi_u32 v11, v4, 24
	v_mul_lo_u32 v4, v4, 24
	v_add_nc_u32_e32 v5, v11, v5
	s_waitcnt vmcnt(0)
	v_add_co_u32 v6, vcc_lo, v6, v4
	v_mov_b32_e32 v4, v9
	v_add_co_ci_u32_e32 v7, vcc_lo, v7, v5, vcc_lo
	v_mov_b32_e32 v5, v10
	global_store_dwordx2 v[6:7], v[9:10], off
	s_waitcnt_vscnt null, 0x0
	global_atomic_cmpswap_x2 v[4:5], v8, v[2:5], s[26:27] offset:24 glc
	s_waitcnt vmcnt(0)
	v_cmp_ne_u64_e32 vcc_lo, v[4:5], v[9:10]
	s_and_b32 exec_lo, exec_lo, vcc_lo
	s_cbranch_execz .LBB4_996
; %bb.994:
	s_mov_b32 s4, 0
.LBB4_995:                              ; =>This Inner Loop Header: Depth=1
	s_sleep 1
	global_store_dwordx2 v[6:7], v[4:5], off
	s_waitcnt_vscnt null, 0x0
	global_atomic_cmpswap_x2 v[9:10], v8, v[2:5], s[26:27] offset:24 glc
	s_waitcnt vmcnt(0)
	v_cmp_eq_u64_e32 vcc_lo, v[9:10], v[4:5]
	v_mov_b32_e32 v4, v9
	v_mov_b32_e32 v5, v10
	s_or_b32 s4, vcc_lo, s4
	s_andn2_b32 exec_lo, exec_lo, s4
	s_cbranch_execnz .LBB4_995
.LBB4_996:
	s_or_b32 exec_lo, exec_lo, s5
	s_and_b32 vcc_lo, exec_lo, s34
	s_cbranch_vccz .LBB4_1075
; %bb.997:
	s_waitcnt vmcnt(0)
	v_and_b32_e32 v31, 2, v0
	v_mov_b32_e32 v6, 0
	v_and_b32_e32 v2, -3, v0
	v_mov_b32_e32 v3, v1
	v_mov_b32_e32 v7, 2
	;; [unrolled: 1-line block ×3, first 2 shown]
	s_mov_b64 s[12:13], 3
	s_getpc_b64 s[8:9]
	s_add_u32 s8, s8, .str.6@rel32@lo+4
	s_addc_u32 s9, s9, .str.6@rel32@hi+12
	s_branch .LBB4_999
.LBB4_998:                              ;   in Loop: Header=BB4_999 Depth=1
	s_or_b32 exec_lo, exec_lo, s5
	s_sub_u32 s12, s12, s14
	s_subb_u32 s13, s13, s15
	s_add_u32 s8, s8, s14
	s_addc_u32 s9, s9, s15
	s_cmp_lg_u64 s[12:13], 0
	s_cbranch_scc0 .LBB4_1074
.LBB4_999:                              ; =>This Loop Header: Depth=1
                                        ;     Child Loop BB4_1008 Depth 2
                                        ;     Child Loop BB4_1004 Depth 2
	;; [unrolled: 1-line block ×11, first 2 shown]
	v_cmp_lt_u64_e64 s4, s[12:13], 56
	v_cmp_gt_u64_e64 s5, s[12:13], 7
                                        ; implicit-def: $vgpr11_vgpr12
                                        ; implicit-def: $sgpr22
	s_and_b32 s4, s4, exec_lo
	s_cselect_b32 s15, s13, 0
	s_cselect_b32 s14, s12, 56
	s_and_b32 vcc_lo, exec_lo, s5
	s_mov_b32 s4, -1
	s_cbranch_vccz .LBB4_1006
; %bb.1000:                             ;   in Loop: Header=BB4_999 Depth=1
	s_andn2_b32 vcc_lo, exec_lo, s4
	s_mov_b64 s[4:5], s[8:9]
	s_cbranch_vccz .LBB4_1010
.LBB4_1001:                             ;   in Loop: Header=BB4_999 Depth=1
	s_cmp_gt_u32 s22, 7
	s_cbranch_scc1 .LBB4_1011
.LBB4_1002:                             ;   in Loop: Header=BB4_999 Depth=1
	v_mov_b32_e32 v13, 0
	v_mov_b32_e32 v14, 0
	s_cmp_eq_u32 s22, 0
	s_cbranch_scc1 .LBB4_1005
; %bb.1003:                             ;   in Loop: Header=BB4_999 Depth=1
	s_mov_b64 s[16:17], 0
	s_mov_b64 s[18:19], 0
.LBB4_1004:                             ;   Parent Loop BB4_999 Depth=1
                                        ; =>  This Inner Loop Header: Depth=2
	s_add_u32 s24, s4, s18
	s_addc_u32 s25, s5, s19
	s_add_u32 s18, s18, 1
	global_load_ubyte v4, v6, s[24:25]
	s_addc_u32 s19, s19, 0
	s_waitcnt vmcnt(0)
	v_and_b32_e32 v5, 0xffff, v4
	v_lshlrev_b64 v[4:5], s16, v[5:6]
	s_add_u32 s16, s16, 8
	s_addc_u32 s17, s17, 0
	s_cmp_lg_u32 s22, s18
	v_or_b32_e32 v13, v4, v13
	v_or_b32_e32 v14, v5, v14
	s_cbranch_scc1 .LBB4_1004
.LBB4_1005:                             ;   in Loop: Header=BB4_999 Depth=1
	s_mov_b32 s23, 0
	s_cbranch_execz .LBB4_1012
	s_branch .LBB4_1013
.LBB4_1006:                             ;   in Loop: Header=BB4_999 Depth=1
	v_mov_b32_e32 v11, 0
	v_mov_b32_e32 v12, 0
	s_cmp_eq_u64 s[12:13], 0
	s_mov_b64 s[4:5], 0
	s_cbranch_scc1 .LBB4_1009
; %bb.1007:                             ;   in Loop: Header=BB4_999 Depth=1
	v_mov_b32_e32 v11, 0
	v_mov_b32_e32 v12, 0
	s_lshl_b64 s[16:17], s[14:15], 3
	s_mov_b64 s[18:19], s[8:9]
.LBB4_1008:                             ;   Parent Loop BB4_999 Depth=1
                                        ; =>  This Inner Loop Header: Depth=2
	global_load_ubyte v4, v6, s[18:19]
	s_waitcnt vmcnt(0)
	v_and_b32_e32 v5, 0xffff, v4
	v_lshlrev_b64 v[4:5], s4, v[5:6]
	s_add_u32 s4, s4, 8
	s_addc_u32 s5, s5, 0
	s_add_u32 s18, s18, 1
	s_addc_u32 s19, s19, 0
	s_cmp_lg_u32 s16, s4
	v_or_b32_e32 v11, v4, v11
	v_or_b32_e32 v12, v5, v12
	s_cbranch_scc1 .LBB4_1008
.LBB4_1009:                             ;   in Loop: Header=BB4_999 Depth=1
	s_mov_b32 s22, 0
	s_mov_b64 s[4:5], s[8:9]
	s_cbranch_execnz .LBB4_1001
.LBB4_1010:                             ;   in Loop: Header=BB4_999 Depth=1
	global_load_dwordx2 v[11:12], v6, s[8:9]
	s_add_i32 s22, s14, -8
	s_add_u32 s4, s8, 8
	s_addc_u32 s5, s9, 0
	s_cmp_gt_u32 s22, 7
	s_cbranch_scc0 .LBB4_1002
.LBB4_1011:                             ;   in Loop: Header=BB4_999 Depth=1
                                        ; implicit-def: $vgpr13_vgpr14
                                        ; implicit-def: $sgpr23
.LBB4_1012:                             ;   in Loop: Header=BB4_999 Depth=1
	global_load_dwordx2 v[13:14], v6, s[4:5]
	s_add_i32 s23, s22, -8
	s_add_u32 s4, s4, 8
	s_addc_u32 s5, s5, 0
.LBB4_1013:                             ;   in Loop: Header=BB4_999 Depth=1
	s_cmp_gt_u32 s23, 7
	s_cbranch_scc1 .LBB4_1018
; %bb.1014:                             ;   in Loop: Header=BB4_999 Depth=1
	v_mov_b32_e32 v15, 0
	v_mov_b32_e32 v16, 0
	s_cmp_eq_u32 s23, 0
	s_cbranch_scc1 .LBB4_1017
; %bb.1015:                             ;   in Loop: Header=BB4_999 Depth=1
	s_mov_b64 s[16:17], 0
	s_mov_b64 s[18:19], 0
.LBB4_1016:                             ;   Parent Loop BB4_999 Depth=1
                                        ; =>  This Inner Loop Header: Depth=2
	s_add_u32 s24, s4, s18
	s_addc_u32 s25, s5, s19
	s_add_u32 s18, s18, 1
	global_load_ubyte v4, v6, s[24:25]
	s_addc_u32 s19, s19, 0
	s_waitcnt vmcnt(0)
	v_and_b32_e32 v5, 0xffff, v4
	v_lshlrev_b64 v[4:5], s16, v[5:6]
	s_add_u32 s16, s16, 8
	s_addc_u32 s17, s17, 0
	s_cmp_lg_u32 s23, s18
	v_or_b32_e32 v15, v4, v15
	v_or_b32_e32 v16, v5, v16
	s_cbranch_scc1 .LBB4_1016
.LBB4_1017:                             ;   in Loop: Header=BB4_999 Depth=1
	s_mov_b32 s22, 0
	s_cbranch_execz .LBB4_1019
	s_branch .LBB4_1020
.LBB4_1018:                             ;   in Loop: Header=BB4_999 Depth=1
                                        ; implicit-def: $sgpr22
.LBB4_1019:                             ;   in Loop: Header=BB4_999 Depth=1
	global_load_dwordx2 v[15:16], v6, s[4:5]
	s_add_i32 s22, s23, -8
	s_add_u32 s4, s4, 8
	s_addc_u32 s5, s5, 0
.LBB4_1020:                             ;   in Loop: Header=BB4_999 Depth=1
	s_cmp_gt_u32 s22, 7
	s_cbranch_scc1 .LBB4_1025
; %bb.1021:                             ;   in Loop: Header=BB4_999 Depth=1
	v_mov_b32_e32 v17, 0
	v_mov_b32_e32 v18, 0
	s_cmp_eq_u32 s22, 0
	s_cbranch_scc1 .LBB4_1024
; %bb.1022:                             ;   in Loop: Header=BB4_999 Depth=1
	s_mov_b64 s[16:17], 0
	s_mov_b64 s[18:19], 0
.LBB4_1023:                             ;   Parent Loop BB4_999 Depth=1
                                        ; =>  This Inner Loop Header: Depth=2
	s_add_u32 s24, s4, s18
	s_addc_u32 s25, s5, s19
	s_add_u32 s18, s18, 1
	global_load_ubyte v4, v6, s[24:25]
	s_addc_u32 s19, s19, 0
	s_waitcnt vmcnt(0)
	v_and_b32_e32 v5, 0xffff, v4
	v_lshlrev_b64 v[4:5], s16, v[5:6]
	s_add_u32 s16, s16, 8
	s_addc_u32 s17, s17, 0
	s_cmp_lg_u32 s22, s18
	v_or_b32_e32 v17, v4, v17
	v_or_b32_e32 v18, v5, v18
	s_cbranch_scc1 .LBB4_1023
.LBB4_1024:                             ;   in Loop: Header=BB4_999 Depth=1
	s_mov_b32 s23, 0
	s_cbranch_execz .LBB4_1026
	s_branch .LBB4_1027
.LBB4_1025:                             ;   in Loop: Header=BB4_999 Depth=1
                                        ; implicit-def: $vgpr17_vgpr18
                                        ; implicit-def: $sgpr23
.LBB4_1026:                             ;   in Loop: Header=BB4_999 Depth=1
	global_load_dwordx2 v[17:18], v6, s[4:5]
	s_add_i32 s23, s22, -8
	s_add_u32 s4, s4, 8
	s_addc_u32 s5, s5, 0
.LBB4_1027:                             ;   in Loop: Header=BB4_999 Depth=1
	s_cmp_gt_u32 s23, 7
	s_cbranch_scc1 .LBB4_1032
; %bb.1028:                             ;   in Loop: Header=BB4_999 Depth=1
	v_mov_b32_e32 v19, 0
	v_mov_b32_e32 v20, 0
	s_cmp_eq_u32 s23, 0
	s_cbranch_scc1 .LBB4_1031
; %bb.1029:                             ;   in Loop: Header=BB4_999 Depth=1
	s_mov_b64 s[16:17], 0
	s_mov_b64 s[18:19], 0
.LBB4_1030:                             ;   Parent Loop BB4_999 Depth=1
                                        ; =>  This Inner Loop Header: Depth=2
	s_add_u32 s24, s4, s18
	s_addc_u32 s25, s5, s19
	s_add_u32 s18, s18, 1
	global_load_ubyte v4, v6, s[24:25]
	s_addc_u32 s19, s19, 0
	s_waitcnt vmcnt(0)
	v_and_b32_e32 v5, 0xffff, v4
	v_lshlrev_b64 v[4:5], s16, v[5:6]
	s_add_u32 s16, s16, 8
	s_addc_u32 s17, s17, 0
	s_cmp_lg_u32 s23, s18
	v_or_b32_e32 v19, v4, v19
	v_or_b32_e32 v20, v5, v20
	s_cbranch_scc1 .LBB4_1030
.LBB4_1031:                             ;   in Loop: Header=BB4_999 Depth=1
	s_mov_b32 s22, 0
	s_cbranch_execz .LBB4_1033
	s_branch .LBB4_1034
.LBB4_1032:                             ;   in Loop: Header=BB4_999 Depth=1
                                        ; implicit-def: $sgpr22
.LBB4_1033:                             ;   in Loop: Header=BB4_999 Depth=1
	global_load_dwordx2 v[19:20], v6, s[4:5]
	s_add_i32 s22, s23, -8
	s_add_u32 s4, s4, 8
	s_addc_u32 s5, s5, 0
.LBB4_1034:                             ;   in Loop: Header=BB4_999 Depth=1
	s_cmp_gt_u32 s22, 7
	s_cbranch_scc1 .LBB4_1039
; %bb.1035:                             ;   in Loop: Header=BB4_999 Depth=1
	v_mov_b32_e32 v21, 0
	v_mov_b32_e32 v22, 0
	s_cmp_eq_u32 s22, 0
	s_cbranch_scc1 .LBB4_1038
; %bb.1036:                             ;   in Loop: Header=BB4_999 Depth=1
	s_mov_b64 s[16:17], 0
	s_mov_b64 s[18:19], 0
.LBB4_1037:                             ;   Parent Loop BB4_999 Depth=1
                                        ; =>  This Inner Loop Header: Depth=2
	s_add_u32 s24, s4, s18
	s_addc_u32 s25, s5, s19
	s_add_u32 s18, s18, 1
	global_load_ubyte v4, v6, s[24:25]
	s_addc_u32 s19, s19, 0
	s_waitcnt vmcnt(0)
	v_and_b32_e32 v5, 0xffff, v4
	v_lshlrev_b64 v[4:5], s16, v[5:6]
	s_add_u32 s16, s16, 8
	s_addc_u32 s17, s17, 0
	s_cmp_lg_u32 s22, s18
	v_or_b32_e32 v21, v4, v21
	v_or_b32_e32 v22, v5, v22
	s_cbranch_scc1 .LBB4_1037
.LBB4_1038:                             ;   in Loop: Header=BB4_999 Depth=1
	s_mov_b32 s23, 0
	s_cbranch_execz .LBB4_1040
	s_branch .LBB4_1041
.LBB4_1039:                             ;   in Loop: Header=BB4_999 Depth=1
                                        ; implicit-def: $vgpr21_vgpr22
                                        ; implicit-def: $sgpr23
.LBB4_1040:                             ;   in Loop: Header=BB4_999 Depth=1
	global_load_dwordx2 v[21:22], v6, s[4:5]
	s_add_i32 s23, s22, -8
	s_add_u32 s4, s4, 8
	s_addc_u32 s5, s5, 0
.LBB4_1041:                             ;   in Loop: Header=BB4_999 Depth=1
	s_cmp_gt_u32 s23, 7
	s_cbranch_scc1 .LBB4_1046
; %bb.1042:                             ;   in Loop: Header=BB4_999 Depth=1
	v_mov_b32_e32 v23, 0
	v_mov_b32_e32 v24, 0
	s_cmp_eq_u32 s23, 0
	s_cbranch_scc1 .LBB4_1045
; %bb.1043:                             ;   in Loop: Header=BB4_999 Depth=1
	s_mov_b64 s[16:17], 0
	s_mov_b64 s[18:19], s[4:5]
.LBB4_1044:                             ;   Parent Loop BB4_999 Depth=1
                                        ; =>  This Inner Loop Header: Depth=2
	global_load_ubyte v4, v6, s[18:19]
	s_add_i32 s23, s23, -1
	s_waitcnt vmcnt(0)
	v_and_b32_e32 v5, 0xffff, v4
	v_lshlrev_b64 v[4:5], s16, v[5:6]
	s_add_u32 s16, s16, 8
	s_addc_u32 s17, s17, 0
	s_add_u32 s18, s18, 1
	s_addc_u32 s19, s19, 0
	s_cmp_lg_u32 s23, 0
	v_or_b32_e32 v23, v4, v23
	v_or_b32_e32 v24, v5, v24
	s_cbranch_scc1 .LBB4_1044
.LBB4_1045:                             ;   in Loop: Header=BB4_999 Depth=1
	s_cbranch_execz .LBB4_1047
	s_branch .LBB4_1048
.LBB4_1046:                             ;   in Loop: Header=BB4_999 Depth=1
.LBB4_1047:                             ;   in Loop: Header=BB4_999 Depth=1
	global_load_dwordx2 v[23:24], v6, s[4:5]
.LBB4_1048:                             ;   in Loop: Header=BB4_999 Depth=1
	v_readfirstlane_b32 s4, v37
	s_waitcnt vmcnt(0)
	v_mov_b32_e32 v4, 0
	v_mov_b32_e32 v5, 0
	v_cmp_eq_u32_e64 s4, s4, v37
	s_and_saveexec_b32 s5, s4
	s_cbranch_execz .LBB4_1054
; %bb.1049:                             ;   in Loop: Header=BB4_999 Depth=1
	global_load_dwordx2 v[27:28], v6, s[26:27] offset:24 glc dlc
	s_waitcnt vmcnt(0)
	buffer_gl1_inv
	buffer_gl0_inv
	s_clause 0x1
	global_load_dwordx2 v[4:5], v6, s[26:27] offset:40
	global_load_dwordx2 v[9:10], v6, s[26:27]
	s_mov_b32 s16, exec_lo
	s_waitcnt vmcnt(1)
	v_and_b32_e32 v5, v5, v28
	v_and_b32_e32 v4, v4, v27
	v_mul_lo_u32 v5, v5, 24
	v_mul_hi_u32 v25, v4, 24
	v_mul_lo_u32 v4, v4, 24
	v_add_nc_u32_e32 v5, v25, v5
	s_waitcnt vmcnt(0)
	v_add_co_u32 v4, vcc_lo, v9, v4
	v_add_co_ci_u32_e32 v5, vcc_lo, v10, v5, vcc_lo
	global_load_dwordx2 v[25:26], v[4:5], off glc dlc
	s_waitcnt vmcnt(0)
	global_atomic_cmpswap_x2 v[4:5], v6, v[25:28], s[26:27] offset:24 glc
	s_waitcnt vmcnt(0)
	buffer_gl1_inv
	buffer_gl0_inv
	v_cmpx_ne_u64_e64 v[4:5], v[27:28]
	s_cbranch_execz .LBB4_1053
; %bb.1050:                             ;   in Loop: Header=BB4_999 Depth=1
	s_mov_b32 s17, 0
	.p2align	6
.LBB4_1051:                             ;   Parent Loop BB4_999 Depth=1
                                        ; =>  This Inner Loop Header: Depth=2
	s_sleep 1
	s_clause 0x1
	global_load_dwordx2 v[9:10], v6, s[26:27] offset:40
	global_load_dwordx2 v[25:26], v6, s[26:27]
	v_mov_b32_e32 v28, v5
	v_mov_b32_e32 v27, v4
	s_waitcnt vmcnt(1)
	v_and_b32_e32 v4, v9, v27
	v_and_b32_e32 v9, v10, v28
	s_waitcnt vmcnt(0)
	v_mad_u64_u32 v[4:5], null, v4, 24, v[25:26]
	v_mad_u64_u32 v[9:10], null, v9, 24, v[5:6]
	v_mov_b32_e32 v5, v9
	global_load_dwordx2 v[25:26], v[4:5], off glc dlc
	s_waitcnt vmcnt(0)
	global_atomic_cmpswap_x2 v[4:5], v6, v[25:28], s[26:27] offset:24 glc
	s_waitcnt vmcnt(0)
	buffer_gl1_inv
	buffer_gl0_inv
	v_cmp_eq_u64_e32 vcc_lo, v[4:5], v[27:28]
	s_or_b32 s17, vcc_lo, s17
	s_andn2_b32 exec_lo, exec_lo, s17
	s_cbranch_execnz .LBB4_1051
; %bb.1052:                             ;   in Loop: Header=BB4_999 Depth=1
	s_or_b32 exec_lo, exec_lo, s17
.LBB4_1053:                             ;   in Loop: Header=BB4_999 Depth=1
	s_or_b32 exec_lo, exec_lo, s16
.LBB4_1054:                             ;   in Loop: Header=BB4_999 Depth=1
	s_or_b32 exec_lo, exec_lo, s5
	s_clause 0x1
	global_load_dwordx2 v[9:10], v6, s[26:27] offset:40
	global_load_dwordx4 v[25:28], v6, s[26:27]
	v_readfirstlane_b32 s16, v4
	v_readfirstlane_b32 s17, v5
	s_mov_b32 s5, exec_lo
	s_waitcnt vmcnt(1)
	v_readfirstlane_b32 s18, v9
	v_readfirstlane_b32 s19, v10
	s_and_b64 s[18:19], s[16:17], s[18:19]
	s_mul_i32 s22, s19, 24
	s_mul_hi_u32 s23, s18, 24
	s_mul_i32 s24, s18, 24
	s_add_i32 s23, s23, s22
	s_waitcnt vmcnt(0)
	v_add_co_u32 v29, vcc_lo, v25, s24
	v_add_co_ci_u32_e32 v30, vcc_lo, s23, v26, vcc_lo
	s_and_saveexec_b32 s22, s4
	s_cbranch_execz .LBB4_1056
; %bb.1055:                             ;   in Loop: Header=BB4_999 Depth=1
	v_mov_b32_e32 v5, s5
	global_store_dwordx4 v[29:30], v[5:8], off offset:8
.LBB4_1056:                             ;   in Loop: Header=BB4_999 Depth=1
	s_or_b32 exec_lo, exec_lo, s22
	s_lshl_b64 s[18:19], s[18:19], 12
	v_cmp_gt_u64_e64 vcc_lo, s[12:13], 56
	v_or_b32_e32 v5, v2, v31
	v_add_co_u32 v27, s5, v27, s18
	v_add_co_ci_u32_e64 v28, s5, s19, v28, s5
	s_lshl_b32 s5, s14, 2
	v_or_b32_e32 v4, 0, v3
	v_cndmask_b32_e32 v2, v5, v2, vcc_lo
	s_add_i32 s5, s5, 28
	v_readfirstlane_b32 s18, v27
	s_and_b32 s5, s5, 0x1e0
	v_cndmask_b32_e32 v10, v4, v3, vcc_lo
	v_readfirstlane_b32 s19, v28
	v_and_or_b32 v9, 0xffffff1f, v2, s5
	global_store_dwordx4 v36, v[9:12], s[18:19]
	global_store_dwordx4 v36, v[13:16], s[18:19] offset:16
	global_store_dwordx4 v36, v[17:20], s[18:19] offset:32
	;; [unrolled: 1-line block ×3, first 2 shown]
	s_and_saveexec_b32 s5, s4
	s_cbranch_execz .LBB4_1064
; %bb.1057:                             ;   in Loop: Header=BB4_999 Depth=1
	s_clause 0x1
	global_load_dwordx2 v[13:14], v6, s[26:27] offset:32 glc dlc
	global_load_dwordx2 v[2:3], v6, s[26:27] offset:40
	v_mov_b32_e32 v11, s16
	v_mov_b32_e32 v12, s17
	s_waitcnt vmcnt(0)
	v_readfirstlane_b32 s18, v2
	v_readfirstlane_b32 s19, v3
	s_and_b64 s[18:19], s[18:19], s[16:17]
	s_mul_i32 s19, s19, 24
	s_mul_hi_u32 s22, s18, 24
	s_mul_i32 s18, s18, 24
	s_add_i32 s22, s22, s19
	v_add_co_u32 v9, vcc_lo, v25, s18
	v_add_co_ci_u32_e32 v10, vcc_lo, s22, v26, vcc_lo
	s_mov_b32 s18, exec_lo
	global_store_dwordx2 v[9:10], v[13:14], off
	s_waitcnt_vscnt null, 0x0
	global_atomic_cmpswap_x2 v[4:5], v6, v[11:14], s[26:27] offset:32 glc
	s_waitcnt vmcnt(0)
	v_cmpx_ne_u64_e64 v[4:5], v[13:14]
	s_cbranch_execz .LBB4_1060
; %bb.1058:                             ;   in Loop: Header=BB4_999 Depth=1
	s_mov_b32 s19, 0
.LBB4_1059:                             ;   Parent Loop BB4_999 Depth=1
                                        ; =>  This Inner Loop Header: Depth=2
	v_mov_b32_e32 v2, s16
	v_mov_b32_e32 v3, s17
	s_sleep 1
	global_store_dwordx2 v[9:10], v[4:5], off
	s_waitcnt_vscnt null, 0x0
	global_atomic_cmpswap_x2 v[2:3], v6, v[2:5], s[26:27] offset:32 glc
	s_waitcnt vmcnt(0)
	v_cmp_eq_u64_e32 vcc_lo, v[2:3], v[4:5]
	v_mov_b32_e32 v5, v3
	v_mov_b32_e32 v4, v2
	s_or_b32 s19, vcc_lo, s19
	s_andn2_b32 exec_lo, exec_lo, s19
	s_cbranch_execnz .LBB4_1059
.LBB4_1060:                             ;   in Loop: Header=BB4_999 Depth=1
	s_or_b32 exec_lo, exec_lo, s18
	global_load_dwordx2 v[2:3], v6, s[26:27] offset:16
	s_mov_b32 s19, exec_lo
	s_mov_b32 s18, exec_lo
	v_mbcnt_lo_u32_b32 v4, s19, 0
	v_cmpx_eq_u32_e32 0, v4
	s_cbranch_execz .LBB4_1062
; %bb.1061:                             ;   in Loop: Header=BB4_999 Depth=1
	s_bcnt1_i32_b32 s19, s19
	v_mov_b32_e32 v5, s19
	s_waitcnt vmcnt(0)
	global_atomic_add_x2 v[2:3], v[5:6], off offset:8
.LBB4_1062:                             ;   in Loop: Header=BB4_999 Depth=1
	s_or_b32 exec_lo, exec_lo, s18
	s_waitcnt vmcnt(0)
	global_load_dwordx2 v[9:10], v[2:3], off offset:16
	s_waitcnt vmcnt(0)
	v_cmp_eq_u64_e32 vcc_lo, 0, v[9:10]
	s_cbranch_vccnz .LBB4_1064
; %bb.1063:                             ;   in Loop: Header=BB4_999 Depth=1
	global_load_dword v5, v[2:3], off offset:24
	s_waitcnt vmcnt(0)
	v_and_b32_e32 v2, 0x7fffff, v5
	s_waitcnt_vscnt null, 0x0
	global_store_dwordx2 v[9:10], v[5:6], off
	v_readfirstlane_b32 m0, v2
	s_sendmsg sendmsg(MSG_INTERRUPT)
.LBB4_1064:                             ;   in Loop: Header=BB4_999 Depth=1
	s_or_b32 exec_lo, exec_lo, s5
	v_add_co_u32 v2, vcc_lo, v27, v36
	v_add_co_ci_u32_e32 v3, vcc_lo, 0, v28, vcc_lo
	s_branch .LBB4_1068
	.p2align	6
.LBB4_1065:                             ;   in Loop: Header=BB4_1068 Depth=2
	s_or_b32 exec_lo, exec_lo, s5
	v_readfirstlane_b32 s5, v4
	s_cmp_eq_u32 s5, 0
	s_cbranch_scc1 .LBB4_1067
; %bb.1066:                             ;   in Loop: Header=BB4_1068 Depth=2
	s_sleep 1
	s_cbranch_execnz .LBB4_1068
	s_branch .LBB4_1070
	.p2align	6
.LBB4_1067:                             ;   in Loop: Header=BB4_999 Depth=1
	s_branch .LBB4_1070
.LBB4_1068:                             ;   Parent Loop BB4_999 Depth=1
                                        ; =>  This Inner Loop Header: Depth=2
	v_mov_b32_e32 v4, 1
	s_and_saveexec_b32 s5, s4
	s_cbranch_execz .LBB4_1065
; %bb.1069:                             ;   in Loop: Header=BB4_1068 Depth=2
	global_load_dword v4, v[29:30], off offset:20 glc dlc
	s_waitcnt vmcnt(0)
	buffer_gl1_inv
	buffer_gl0_inv
	v_and_b32_e32 v4, 1, v4
	s_branch .LBB4_1065
.LBB4_1070:                             ;   in Loop: Header=BB4_999 Depth=1
	global_load_dwordx4 v[2:5], v[2:3], off
	s_and_saveexec_b32 s5, s4
	s_cbranch_execz .LBB4_998
; %bb.1071:                             ;   in Loop: Header=BB4_999 Depth=1
	s_clause 0x2
	global_load_dwordx2 v[4:5], v6, s[26:27] offset:40
	global_load_dwordx2 v[13:14], v6, s[26:27] offset:24 glc dlc
	global_load_dwordx2 v[11:12], v6, s[26:27]
	s_waitcnt vmcnt(2)
	v_add_co_u32 v15, vcc_lo, v4, 1
	v_add_co_ci_u32_e32 v16, vcc_lo, 0, v5, vcc_lo
	v_add_co_u32 v9, vcc_lo, v15, s16
	v_add_co_ci_u32_e32 v10, vcc_lo, s17, v16, vcc_lo
	v_cmp_eq_u64_e32 vcc_lo, 0, v[9:10]
	v_cndmask_b32_e32 v10, v10, v16, vcc_lo
	v_cndmask_b32_e32 v9, v9, v15, vcc_lo
	v_and_b32_e32 v5, v10, v5
	v_and_b32_e32 v4, v9, v4
	v_mul_lo_u32 v5, v5, 24
	v_mul_hi_u32 v15, v4, 24
	v_mul_lo_u32 v4, v4, 24
	v_add_nc_u32_e32 v5, v15, v5
	s_waitcnt vmcnt(0)
	v_add_co_u32 v4, vcc_lo, v11, v4
	v_mov_b32_e32 v11, v13
	v_add_co_ci_u32_e32 v5, vcc_lo, v12, v5, vcc_lo
	v_mov_b32_e32 v12, v14
	global_store_dwordx2 v[4:5], v[13:14], off
	s_waitcnt_vscnt null, 0x0
	global_atomic_cmpswap_x2 v[11:12], v6, v[9:12], s[26:27] offset:24 glc
	s_waitcnt vmcnt(0)
	v_cmp_ne_u64_e32 vcc_lo, v[11:12], v[13:14]
	s_and_b32 exec_lo, exec_lo, vcc_lo
	s_cbranch_execz .LBB4_998
; %bb.1072:                             ;   in Loop: Header=BB4_999 Depth=1
	s_mov_b32 s4, 0
.LBB4_1073:                             ;   Parent Loop BB4_999 Depth=1
                                        ; =>  This Inner Loop Header: Depth=2
	s_sleep 1
	global_store_dwordx2 v[4:5], v[11:12], off
	s_waitcnt_vscnt null, 0x0
	global_atomic_cmpswap_x2 v[13:14], v6, v[9:12], s[26:27] offset:24 glc
	s_waitcnt vmcnt(0)
	v_cmp_eq_u64_e32 vcc_lo, v[13:14], v[11:12]
	v_mov_b32_e32 v11, v13
	v_mov_b32_e32 v12, v14
	s_or_b32 s4, vcc_lo, s4
	s_andn2_b32 exec_lo, exec_lo, s4
	s_cbranch_execnz .LBB4_1073
	s_branch .LBB4_998
.LBB4_1074:
	s_branch .LBB4_1103
.LBB4_1075:
                                        ; implicit-def: $vgpr2_vgpr3
	s_cbranch_execz .LBB4_1103
; %bb.1076:
	v_readfirstlane_b32 s4, v37
	v_mov_b32_e32 v8, 0
	v_mov_b32_e32 v9, 0
	v_cmp_eq_u32_e64 s4, s4, v37
	s_and_saveexec_b32 s5, s4
	s_cbranch_execz .LBB4_1082
; %bb.1077:
	s_waitcnt vmcnt(0)
	v_mov_b32_e32 v2, 0
	s_mov_b32 s8, exec_lo
	global_load_dwordx2 v[5:6], v2, s[26:27] offset:24 glc dlc
	s_waitcnt vmcnt(0)
	buffer_gl1_inv
	buffer_gl0_inv
	s_clause 0x1
	global_load_dwordx2 v[3:4], v2, s[26:27] offset:40
	global_load_dwordx2 v[7:8], v2, s[26:27]
	s_waitcnt vmcnt(1)
	v_and_b32_e32 v4, v4, v6
	v_and_b32_e32 v3, v3, v5
	v_mul_lo_u32 v4, v4, 24
	v_mul_hi_u32 v9, v3, 24
	v_mul_lo_u32 v3, v3, 24
	v_add_nc_u32_e32 v4, v9, v4
	s_waitcnt vmcnt(0)
	v_add_co_u32 v3, vcc_lo, v7, v3
	v_add_co_ci_u32_e32 v4, vcc_lo, v8, v4, vcc_lo
	global_load_dwordx2 v[3:4], v[3:4], off glc dlc
	s_waitcnt vmcnt(0)
	global_atomic_cmpswap_x2 v[8:9], v2, v[3:6], s[26:27] offset:24 glc
	s_waitcnt vmcnt(0)
	buffer_gl1_inv
	buffer_gl0_inv
	v_cmpx_ne_u64_e64 v[8:9], v[5:6]
	s_cbranch_execz .LBB4_1081
; %bb.1078:
	s_mov_b32 s9, 0
.LBB4_1079:                             ; =>This Inner Loop Header: Depth=1
	s_sleep 1
	s_clause 0x1
	global_load_dwordx2 v[3:4], v2, s[26:27] offset:40
	global_load_dwordx2 v[10:11], v2, s[26:27]
	v_mov_b32_e32 v5, v8
	v_mov_b32_e32 v6, v9
	s_waitcnt vmcnt(1)
	v_and_b32_e32 v3, v3, v5
	v_and_b32_e32 v4, v4, v6
	s_waitcnt vmcnt(0)
	v_mad_u64_u32 v[7:8], null, v3, 24, v[10:11]
	v_mov_b32_e32 v3, v8
	v_mad_u64_u32 v[3:4], null, v4, 24, v[3:4]
	v_mov_b32_e32 v8, v3
	global_load_dwordx2 v[3:4], v[7:8], off glc dlc
	s_waitcnt vmcnt(0)
	global_atomic_cmpswap_x2 v[8:9], v2, v[3:6], s[26:27] offset:24 glc
	s_waitcnt vmcnt(0)
	buffer_gl1_inv
	buffer_gl0_inv
	v_cmp_eq_u64_e32 vcc_lo, v[8:9], v[5:6]
	s_or_b32 s9, vcc_lo, s9
	s_andn2_b32 exec_lo, exec_lo, s9
	s_cbranch_execnz .LBB4_1079
; %bb.1080:
	s_or_b32 exec_lo, exec_lo, s9
.LBB4_1081:
	s_or_b32 exec_lo, exec_lo, s8
.LBB4_1082:
	s_or_b32 exec_lo, exec_lo, s5
	s_waitcnt vmcnt(0)
	v_mov_b32_e32 v2, 0
	v_readfirstlane_b32 s8, v8
	v_readfirstlane_b32 s9, v9
	s_mov_b32 s5, exec_lo
	s_clause 0x1
	global_load_dwordx2 v[10:11], v2, s[26:27] offset:40
	global_load_dwordx4 v[4:7], v2, s[26:27]
	s_waitcnt vmcnt(1)
	v_readfirstlane_b32 s12, v10
	v_readfirstlane_b32 s13, v11
	s_and_b64 s[12:13], s[8:9], s[12:13]
	s_mul_i32 s14, s13, 24
	s_mul_hi_u32 s15, s12, 24
	s_mul_i32 s16, s12, 24
	s_add_i32 s15, s15, s14
	s_waitcnt vmcnt(0)
	v_add_co_u32 v8, vcc_lo, v4, s16
	v_add_co_ci_u32_e32 v9, vcc_lo, s15, v5, vcc_lo
	s_and_saveexec_b32 s14, s4
	s_cbranch_execz .LBB4_1084
; %bb.1083:
	v_mov_b32_e32 v10, s5
	v_mov_b32_e32 v11, v2
	;; [unrolled: 1-line block ×4, first 2 shown]
	global_store_dwordx4 v[8:9], v[10:13], off offset:8
.LBB4_1084:
	s_or_b32 exec_lo, exec_lo, s14
	s_lshl_b64 s[12:13], s[12:13], 12
	v_and_or_b32 v0, 0xffffff1f, v0, 32
	v_add_co_u32 v6, vcc_lo, v6, s12
	v_add_co_ci_u32_e32 v7, vcc_lo, s13, v7, vcc_lo
	s_mov_b32 s12, 0
	v_readfirstlane_b32 s16, v6
	v_add_co_u32 v6, vcc_lo, v6, v36
	s_mov_b32 s13, s12
	s_mov_b32 s14, s12
	;; [unrolled: 1-line block ×3, first 2 shown]
	v_mov_b32_e32 v3, v2
	v_readfirstlane_b32 s17, v7
	v_mov_b32_e32 v10, s12
	v_add_co_ci_u32_e32 v7, vcc_lo, 0, v7, vcc_lo
	v_mov_b32_e32 v11, s13
	v_mov_b32_e32 v12, s14
	;; [unrolled: 1-line block ×3, first 2 shown]
	global_store_dwordx4 v36, v[0:3], s[16:17]
	global_store_dwordx4 v36, v[10:13], s[16:17] offset:16
	global_store_dwordx4 v36, v[10:13], s[16:17] offset:32
	;; [unrolled: 1-line block ×3, first 2 shown]
	s_and_saveexec_b32 s5, s4
	s_cbranch_execz .LBB4_1092
; %bb.1085:
	v_mov_b32_e32 v10, 0
	v_mov_b32_e32 v11, s8
	;; [unrolled: 1-line block ×3, first 2 shown]
	s_clause 0x1
	global_load_dwordx2 v[13:14], v10, s[26:27] offset:32 glc dlc
	global_load_dwordx2 v[0:1], v10, s[26:27] offset:40
	s_waitcnt vmcnt(0)
	v_readfirstlane_b32 s12, v0
	v_readfirstlane_b32 s13, v1
	s_and_b64 s[12:13], s[12:13], s[8:9]
	s_mul_i32 s13, s13, 24
	s_mul_hi_u32 s14, s12, 24
	s_mul_i32 s12, s12, 24
	s_add_i32 s14, s14, s13
	v_add_co_u32 v4, vcc_lo, v4, s12
	v_add_co_ci_u32_e32 v5, vcc_lo, s14, v5, vcc_lo
	s_mov_b32 s12, exec_lo
	global_store_dwordx2 v[4:5], v[13:14], off
	s_waitcnt_vscnt null, 0x0
	global_atomic_cmpswap_x2 v[2:3], v10, v[11:14], s[26:27] offset:32 glc
	s_waitcnt vmcnt(0)
	v_cmpx_ne_u64_e64 v[2:3], v[13:14]
	s_cbranch_execz .LBB4_1088
; %bb.1086:
	s_mov_b32 s13, 0
.LBB4_1087:                             ; =>This Inner Loop Header: Depth=1
	v_mov_b32_e32 v0, s8
	v_mov_b32_e32 v1, s9
	s_sleep 1
	global_store_dwordx2 v[4:5], v[2:3], off
	s_waitcnt_vscnt null, 0x0
	global_atomic_cmpswap_x2 v[0:1], v10, v[0:3], s[26:27] offset:32 glc
	s_waitcnt vmcnt(0)
	v_cmp_eq_u64_e32 vcc_lo, v[0:1], v[2:3]
	v_mov_b32_e32 v3, v1
	v_mov_b32_e32 v2, v0
	s_or_b32 s13, vcc_lo, s13
	s_andn2_b32 exec_lo, exec_lo, s13
	s_cbranch_execnz .LBB4_1087
.LBB4_1088:
	s_or_b32 exec_lo, exec_lo, s12
	v_mov_b32_e32 v3, 0
	s_mov_b32 s13, exec_lo
	s_mov_b32 s12, exec_lo
	v_mbcnt_lo_u32_b32 v2, s13, 0
	global_load_dwordx2 v[0:1], v3, s[26:27] offset:16
	v_cmpx_eq_u32_e32 0, v2
	s_cbranch_execz .LBB4_1090
; %bb.1089:
	s_bcnt1_i32_b32 s13, s13
	v_mov_b32_e32 v2, s13
	s_waitcnt vmcnt(0)
	global_atomic_add_x2 v[0:1], v[2:3], off offset:8
.LBB4_1090:
	s_or_b32 exec_lo, exec_lo, s12
	s_waitcnt vmcnt(0)
	global_load_dwordx2 v[2:3], v[0:1], off offset:16
	s_waitcnt vmcnt(0)
	v_cmp_eq_u64_e32 vcc_lo, 0, v[2:3]
	s_cbranch_vccnz .LBB4_1092
; %bb.1091:
	global_load_dword v0, v[0:1], off offset:24
	v_mov_b32_e32 v1, 0
	s_waitcnt vmcnt(0)
	v_and_b32_e32 v4, 0x7fffff, v0
	s_waitcnt_vscnt null, 0x0
	global_store_dwordx2 v[2:3], v[0:1], off
	v_readfirstlane_b32 m0, v4
	s_sendmsg sendmsg(MSG_INTERRUPT)
.LBB4_1092:
	s_or_b32 exec_lo, exec_lo, s5
	s_branch .LBB4_1096
	.p2align	6
.LBB4_1093:                             ;   in Loop: Header=BB4_1096 Depth=1
	s_or_b32 exec_lo, exec_lo, s5
	v_readfirstlane_b32 s5, v0
	s_cmp_eq_u32 s5, 0
	s_cbranch_scc1 .LBB4_1095
; %bb.1094:                             ;   in Loop: Header=BB4_1096 Depth=1
	s_sleep 1
	s_cbranch_execnz .LBB4_1096
	s_branch .LBB4_1098
	.p2align	6
.LBB4_1095:
	s_branch .LBB4_1098
.LBB4_1096:                             ; =>This Inner Loop Header: Depth=1
	v_mov_b32_e32 v0, 1
	s_and_saveexec_b32 s5, s4
	s_cbranch_execz .LBB4_1093
; %bb.1097:                             ;   in Loop: Header=BB4_1096 Depth=1
	global_load_dword v0, v[8:9], off offset:20 glc dlc
	s_waitcnt vmcnt(0)
	buffer_gl1_inv
	buffer_gl0_inv
	v_and_b32_e32 v0, 1, v0
	s_branch .LBB4_1093
.LBB4_1098:
	global_load_dwordx2 v[2:3], v[6:7], off
	s_and_saveexec_b32 s5, s4
	s_cbranch_execz .LBB4_1102
; %bb.1099:
	v_mov_b32_e32 v8, 0
	s_clause 0x2
	global_load_dwordx2 v[0:1], v8, s[26:27] offset:40
	global_load_dwordx2 v[9:10], v8, s[26:27] offset:24 glc dlc
	global_load_dwordx2 v[6:7], v8, s[26:27]
	s_waitcnt vmcnt(2)
	v_add_co_u32 v11, vcc_lo, v0, 1
	v_add_co_ci_u32_e32 v12, vcc_lo, 0, v1, vcc_lo
	v_add_co_u32 v4, vcc_lo, v11, s8
	v_add_co_ci_u32_e32 v5, vcc_lo, s9, v12, vcc_lo
	v_cmp_eq_u64_e32 vcc_lo, 0, v[4:5]
	v_cndmask_b32_e32 v5, v5, v12, vcc_lo
	v_cndmask_b32_e32 v4, v4, v11, vcc_lo
	v_and_b32_e32 v1, v5, v1
	v_and_b32_e32 v0, v4, v0
	v_mul_lo_u32 v1, v1, 24
	v_mul_hi_u32 v11, v0, 24
	v_mul_lo_u32 v0, v0, 24
	v_add_nc_u32_e32 v1, v11, v1
	s_waitcnt vmcnt(0)
	v_add_co_u32 v0, vcc_lo, v6, v0
	v_mov_b32_e32 v6, v9
	v_add_co_ci_u32_e32 v1, vcc_lo, v7, v1, vcc_lo
	v_mov_b32_e32 v7, v10
	global_store_dwordx2 v[0:1], v[9:10], off
	s_waitcnt_vscnt null, 0x0
	global_atomic_cmpswap_x2 v[6:7], v8, v[4:7], s[26:27] offset:24 glc
	s_waitcnt vmcnt(0)
	v_cmp_ne_u64_e32 vcc_lo, v[6:7], v[9:10]
	s_and_b32 exec_lo, exec_lo, vcc_lo
	s_cbranch_execz .LBB4_1102
; %bb.1100:
	s_mov_b32 s4, 0
.LBB4_1101:                             ; =>This Inner Loop Header: Depth=1
	s_sleep 1
	global_store_dwordx2 v[0:1], v[6:7], off
	s_waitcnt_vscnt null, 0x0
	global_atomic_cmpswap_x2 v[9:10], v8, v[4:7], s[26:27] offset:24 glc
	s_waitcnt vmcnt(0)
	v_cmp_eq_u64_e32 vcc_lo, v[9:10], v[6:7]
	v_mov_b32_e32 v6, v9
	v_mov_b32_e32 v7, v10
	s_or_b32 s4, vcc_lo, s4
	s_andn2_b32 exec_lo, exec_lo, s4
	s_cbranch_execnz .LBB4_1101
.LBB4_1102:
	s_or_b32 exec_lo, exec_lo, s5
.LBB4_1103:
	v_readfirstlane_b32 s4, v37
	s_waitcnt vmcnt(0)
	v_mov_b32_e32 v0, 0
	v_mov_b32_e32 v1, 0
	v_cmp_eq_u32_e64 s4, s4, v37
	s_and_saveexec_b32 s5, s4
	s_cbranch_execz .LBB4_1109
; %bb.1104:
	v_mov_b32_e32 v4, 0
	s_mov_b32 s8, exec_lo
	global_load_dwordx2 v[7:8], v4, s[26:27] offset:24 glc dlc
	s_waitcnt vmcnt(0)
	buffer_gl1_inv
	buffer_gl0_inv
	s_clause 0x1
	global_load_dwordx2 v[0:1], v4, s[26:27] offset:40
	global_load_dwordx2 v[5:6], v4, s[26:27]
	s_waitcnt vmcnt(1)
	v_and_b32_e32 v1, v1, v8
	v_and_b32_e32 v0, v0, v7
	v_mul_lo_u32 v1, v1, 24
	v_mul_hi_u32 v9, v0, 24
	v_mul_lo_u32 v0, v0, 24
	v_add_nc_u32_e32 v1, v9, v1
	s_waitcnt vmcnt(0)
	v_add_co_u32 v0, vcc_lo, v5, v0
	v_add_co_ci_u32_e32 v1, vcc_lo, v6, v1, vcc_lo
	global_load_dwordx2 v[5:6], v[0:1], off glc dlc
	s_waitcnt vmcnt(0)
	global_atomic_cmpswap_x2 v[0:1], v4, v[5:8], s[26:27] offset:24 glc
	s_waitcnt vmcnt(0)
	buffer_gl1_inv
	buffer_gl0_inv
	v_cmpx_ne_u64_e64 v[0:1], v[7:8]
	s_cbranch_execz .LBB4_1108
; %bb.1105:
	s_mov_b32 s9, 0
	.p2align	6
.LBB4_1106:                             ; =>This Inner Loop Header: Depth=1
	s_sleep 1
	s_clause 0x1
	global_load_dwordx2 v[5:6], v4, s[26:27] offset:40
	global_load_dwordx2 v[9:10], v4, s[26:27]
	v_mov_b32_e32 v8, v1
	v_mov_b32_e32 v7, v0
	s_waitcnt vmcnt(1)
	v_and_b32_e32 v0, v5, v7
	v_and_b32_e32 v5, v6, v8
	s_waitcnt vmcnt(0)
	v_mad_u64_u32 v[0:1], null, v0, 24, v[9:10]
	v_mad_u64_u32 v[5:6], null, v5, 24, v[1:2]
	v_mov_b32_e32 v1, v5
	global_load_dwordx2 v[5:6], v[0:1], off glc dlc
	s_waitcnt vmcnt(0)
	global_atomic_cmpswap_x2 v[0:1], v4, v[5:8], s[26:27] offset:24 glc
	s_waitcnt vmcnt(0)
	buffer_gl1_inv
	buffer_gl0_inv
	v_cmp_eq_u64_e32 vcc_lo, v[0:1], v[7:8]
	s_or_b32 s9, vcc_lo, s9
	s_andn2_b32 exec_lo, exec_lo, s9
	s_cbranch_execnz .LBB4_1106
; %bb.1107:
	s_or_b32 exec_lo, exec_lo, s9
.LBB4_1108:
	s_or_b32 exec_lo, exec_lo, s8
.LBB4_1109:
	s_or_b32 exec_lo, exec_lo, s5
	v_mov_b32_e32 v5, 0
	v_readfirstlane_b32 s8, v0
	v_readfirstlane_b32 s9, v1
	s_mov_b32 s5, exec_lo
	s_clause 0x1
	global_load_dwordx2 v[10:11], v5, s[26:27] offset:40
	global_load_dwordx4 v[6:9], v5, s[26:27]
	s_waitcnt vmcnt(1)
	v_readfirstlane_b32 s12, v10
	v_readfirstlane_b32 s13, v11
	s_and_b64 s[12:13], s[8:9], s[12:13]
	s_mul_i32 s14, s13, 24
	s_mul_hi_u32 s15, s12, 24
	s_mul_i32 s16, s12, 24
	s_add_i32 s15, s15, s14
	s_waitcnt vmcnt(0)
	v_add_co_u32 v10, vcc_lo, v6, s16
	v_add_co_ci_u32_e32 v11, vcc_lo, s15, v7, vcc_lo
	s_and_saveexec_b32 s14, s4
	s_cbranch_execz .LBB4_1111
; %bb.1110:
	v_mov_b32_e32 v4, s5
	v_mov_b32_e32 v13, v5
	;; [unrolled: 1-line block ×5, first 2 shown]
	global_store_dwordx4 v[10:11], v[12:15], off offset:8
.LBB4_1111:
	s_or_b32 exec_lo, exec_lo, s14
	s_lshl_b64 s[12:13], s[12:13], 12
	v_and_or_b32 v2, 0xffffff1d, v2, 34
	v_add_co_u32 v0, vcc_lo, v8, s12
	v_add_co_ci_u32_e32 v1, vcc_lo, s13, v9, vcc_lo
	s_mov_b32 s12, 0
	v_mov_b32_e32 v4, 58
	s_mov_b32 s13, s12
	s_mov_b32 s14, s12
	;; [unrolled: 1-line block ×3, first 2 shown]
	v_readfirstlane_b32 s16, v0
	v_readfirstlane_b32 s17, v1
	v_mov_b32_e32 v12, s12
	v_mov_b32_e32 v13, s13
	;; [unrolled: 1-line block ×4, first 2 shown]
	global_store_dwordx4 v36, v[2:5], s[16:17]
	global_store_dwordx4 v36, v[12:15], s[16:17] offset:16
	global_store_dwordx4 v36, v[12:15], s[16:17] offset:32
	;; [unrolled: 1-line block ×3, first 2 shown]
	s_and_saveexec_b32 s5, s4
	s_cbranch_execz .LBB4_1119
; %bb.1112:
	v_mov_b32_e32 v8, 0
	v_mov_b32_e32 v12, s8
	;; [unrolled: 1-line block ×3, first 2 shown]
	s_clause 0x1
	global_load_dwordx2 v[14:15], v8, s[26:27] offset:32 glc dlc
	global_load_dwordx2 v[0:1], v8, s[26:27] offset:40
	s_waitcnt vmcnt(0)
	v_readfirstlane_b32 s12, v0
	v_readfirstlane_b32 s13, v1
	s_and_b64 s[12:13], s[12:13], s[8:9]
	s_mul_i32 s13, s13, 24
	s_mul_hi_u32 s14, s12, 24
	s_mul_i32 s12, s12, 24
	s_add_i32 s14, s14, s13
	v_add_co_u32 v4, vcc_lo, v6, s12
	v_add_co_ci_u32_e32 v5, vcc_lo, s14, v7, vcc_lo
	s_mov_b32 s12, exec_lo
	global_store_dwordx2 v[4:5], v[14:15], off
	s_waitcnt_vscnt null, 0x0
	global_atomic_cmpswap_x2 v[2:3], v8, v[12:15], s[26:27] offset:32 glc
	s_waitcnt vmcnt(0)
	v_cmpx_ne_u64_e64 v[2:3], v[14:15]
	s_cbranch_execz .LBB4_1115
; %bb.1113:
	s_mov_b32 s13, 0
.LBB4_1114:                             ; =>This Inner Loop Header: Depth=1
	v_mov_b32_e32 v0, s8
	v_mov_b32_e32 v1, s9
	s_sleep 1
	global_store_dwordx2 v[4:5], v[2:3], off
	s_waitcnt_vscnt null, 0x0
	global_atomic_cmpswap_x2 v[0:1], v8, v[0:3], s[26:27] offset:32 glc
	s_waitcnt vmcnt(0)
	v_cmp_eq_u64_e32 vcc_lo, v[0:1], v[2:3]
	v_mov_b32_e32 v3, v1
	v_mov_b32_e32 v2, v0
	s_or_b32 s13, vcc_lo, s13
	s_andn2_b32 exec_lo, exec_lo, s13
	s_cbranch_execnz .LBB4_1114
.LBB4_1115:
	s_or_b32 exec_lo, exec_lo, s12
	v_mov_b32_e32 v3, 0
	s_mov_b32 s13, exec_lo
	s_mov_b32 s12, exec_lo
	v_mbcnt_lo_u32_b32 v2, s13, 0
	global_load_dwordx2 v[0:1], v3, s[26:27] offset:16
	v_cmpx_eq_u32_e32 0, v2
	s_cbranch_execz .LBB4_1117
; %bb.1116:
	s_bcnt1_i32_b32 s13, s13
	v_mov_b32_e32 v2, s13
	s_waitcnt vmcnt(0)
	global_atomic_add_x2 v[0:1], v[2:3], off offset:8
.LBB4_1117:
	s_or_b32 exec_lo, exec_lo, s12
	s_waitcnt vmcnt(0)
	global_load_dwordx2 v[2:3], v[0:1], off offset:16
	s_waitcnt vmcnt(0)
	v_cmp_eq_u64_e32 vcc_lo, 0, v[2:3]
	s_cbranch_vccnz .LBB4_1119
; %bb.1118:
	global_load_dword v0, v[0:1], off offset:24
	v_mov_b32_e32 v1, 0
	s_waitcnt vmcnt(0)
	v_and_b32_e32 v4, 0x7fffff, v0
	s_waitcnt_vscnt null, 0x0
	global_store_dwordx2 v[2:3], v[0:1], off
	v_readfirstlane_b32 m0, v4
	s_sendmsg sendmsg(MSG_INTERRUPT)
.LBB4_1119:
	s_or_b32 exec_lo, exec_lo, s5
	s_branch .LBB4_1123
	.p2align	6
.LBB4_1120:                             ;   in Loop: Header=BB4_1123 Depth=1
	s_or_b32 exec_lo, exec_lo, s5
	v_readfirstlane_b32 s5, v0
	s_cmp_eq_u32 s5, 0
	s_cbranch_scc1 .LBB4_1122
; %bb.1121:                             ;   in Loop: Header=BB4_1123 Depth=1
	s_sleep 1
	s_cbranch_execnz .LBB4_1123
	s_branch .LBB4_1125
	.p2align	6
.LBB4_1122:
	s_branch .LBB4_1125
.LBB4_1123:                             ; =>This Inner Loop Header: Depth=1
	v_mov_b32_e32 v0, 1
	s_and_saveexec_b32 s5, s4
	s_cbranch_execz .LBB4_1120
; %bb.1124:                             ;   in Loop: Header=BB4_1123 Depth=1
	global_load_dword v0, v[10:11], off offset:20 glc dlc
	s_waitcnt vmcnt(0)
	buffer_gl1_inv
	buffer_gl0_inv
	v_and_b32_e32 v0, 1, v0
	s_branch .LBB4_1120
.LBB4_1125:
	s_and_saveexec_b32 s5, s4
	s_cbranch_execz .LBB4_1129
; %bb.1126:
	v_mov_b32_e32 v6, 0
	s_clause 0x2
	global_load_dwordx2 v[2:3], v6, s[26:27] offset:40
	global_load_dwordx2 v[7:8], v6, s[26:27] offset:24 glc dlc
	global_load_dwordx2 v[4:5], v6, s[26:27]
	s_waitcnt vmcnt(2)
	v_add_co_u32 v9, vcc_lo, v2, 1
	v_add_co_ci_u32_e32 v10, vcc_lo, 0, v3, vcc_lo
	v_add_co_u32 v0, vcc_lo, v9, s8
	v_add_co_ci_u32_e32 v1, vcc_lo, s9, v10, vcc_lo
	v_cmp_eq_u64_e32 vcc_lo, 0, v[0:1]
	v_cndmask_b32_e32 v1, v1, v10, vcc_lo
	v_cndmask_b32_e32 v0, v0, v9, vcc_lo
	v_and_b32_e32 v3, v1, v3
	v_and_b32_e32 v2, v0, v2
	v_mul_lo_u32 v3, v3, 24
	v_mul_hi_u32 v9, v2, 24
	v_mul_lo_u32 v2, v2, 24
	v_add_nc_u32_e32 v3, v9, v3
	s_waitcnt vmcnt(0)
	v_add_co_u32 v4, vcc_lo, v4, v2
	v_mov_b32_e32 v2, v7
	v_add_co_ci_u32_e32 v5, vcc_lo, v5, v3, vcc_lo
	v_mov_b32_e32 v3, v8
	global_store_dwordx2 v[4:5], v[7:8], off
	s_waitcnt_vscnt null, 0x0
	global_atomic_cmpswap_x2 v[2:3], v6, v[0:3], s[26:27] offset:24 glc
	s_waitcnt vmcnt(0)
	v_cmp_ne_u64_e32 vcc_lo, v[2:3], v[7:8]
	s_and_b32 exec_lo, exec_lo, vcc_lo
	s_cbranch_execz .LBB4_1129
; %bb.1127:
	s_mov_b32 s4, 0
.LBB4_1128:                             ; =>This Inner Loop Header: Depth=1
	s_sleep 1
	global_store_dwordx2 v[4:5], v[2:3], off
	s_waitcnt_vscnt null, 0x0
	global_atomic_cmpswap_x2 v[7:8], v6, v[0:3], s[26:27] offset:24 glc
	s_waitcnt vmcnt(0)
	v_cmp_eq_u64_e32 vcc_lo, v[7:8], v[2:3]
	v_mov_b32_e32 v2, v7
	v_mov_b32_e32 v3, v8
	s_or_b32 s4, vcc_lo, s4
	s_andn2_b32 exec_lo, exec_lo, s4
	s_cbranch_execnz .LBB4_1128
.LBB4_1129:
	s_or_b32 exec_lo, exec_lo, s5
	v_readfirstlane_b32 s4, v37
	v_mov_b32_e32 v6, 0
	v_mov_b32_e32 v7, 0
	v_cmp_eq_u32_e64 s4, s4, v37
	s_and_saveexec_b32 s5, s4
	s_cbranch_execz .LBB4_1135
; %bb.1130:
	v_mov_b32_e32 v0, 0
	s_mov_b32 s8, exec_lo
	global_load_dwordx2 v[3:4], v0, s[26:27] offset:24 glc dlc
	s_waitcnt vmcnt(0)
	buffer_gl1_inv
	buffer_gl0_inv
	s_clause 0x1
	global_load_dwordx2 v[1:2], v0, s[26:27] offset:40
	global_load_dwordx2 v[5:6], v0, s[26:27]
	s_waitcnt vmcnt(1)
	v_and_b32_e32 v2, v2, v4
	v_and_b32_e32 v1, v1, v3
	v_mul_lo_u32 v2, v2, 24
	v_mul_hi_u32 v7, v1, 24
	v_mul_lo_u32 v1, v1, 24
	v_add_nc_u32_e32 v2, v7, v2
	s_waitcnt vmcnt(0)
	v_add_co_u32 v1, vcc_lo, v5, v1
	v_add_co_ci_u32_e32 v2, vcc_lo, v6, v2, vcc_lo
	global_load_dwordx2 v[1:2], v[1:2], off glc dlc
	s_waitcnt vmcnt(0)
	global_atomic_cmpswap_x2 v[6:7], v0, v[1:4], s[26:27] offset:24 glc
	s_waitcnt vmcnt(0)
	buffer_gl1_inv
	buffer_gl0_inv
	v_cmpx_ne_u64_e64 v[6:7], v[3:4]
	s_cbranch_execz .LBB4_1134
; %bb.1131:
	s_mov_b32 s9, 0
	.p2align	6
.LBB4_1132:                             ; =>This Inner Loop Header: Depth=1
	s_sleep 1
	s_clause 0x1
	global_load_dwordx2 v[1:2], v0, s[26:27] offset:40
	global_load_dwordx2 v[8:9], v0, s[26:27]
	v_mov_b32_e32 v3, v6
	v_mov_b32_e32 v4, v7
	s_waitcnt vmcnt(1)
	v_and_b32_e32 v1, v1, v3
	v_and_b32_e32 v2, v2, v4
	s_waitcnt vmcnt(0)
	v_mad_u64_u32 v[5:6], null, v1, 24, v[8:9]
	v_mov_b32_e32 v1, v6
	v_mad_u64_u32 v[1:2], null, v2, 24, v[1:2]
	v_mov_b32_e32 v6, v1
	global_load_dwordx2 v[1:2], v[5:6], off glc dlc
	s_waitcnt vmcnt(0)
	global_atomic_cmpswap_x2 v[6:7], v0, v[1:4], s[26:27] offset:24 glc
	s_waitcnt vmcnt(0)
	buffer_gl1_inv
	buffer_gl0_inv
	v_cmp_eq_u64_e32 vcc_lo, v[6:7], v[3:4]
	s_or_b32 s9, vcc_lo, s9
	s_andn2_b32 exec_lo, exec_lo, s9
	s_cbranch_execnz .LBB4_1132
; %bb.1133:
	s_or_b32 exec_lo, exec_lo, s9
.LBB4_1134:
	s_or_b32 exec_lo, exec_lo, s8
.LBB4_1135:
	s_or_b32 exec_lo, exec_lo, s5
	v_mov_b32_e32 v5, 0
	v_readfirstlane_b32 s8, v6
	v_readfirstlane_b32 s9, v7
	s_mov_b32 s5, exec_lo
	s_clause 0x1
	global_load_dwordx2 v[8:9], v5, s[26:27] offset:40
	global_load_dwordx4 v[0:3], v5, s[26:27]
	s_waitcnt vmcnt(1)
	v_readfirstlane_b32 s12, v8
	v_readfirstlane_b32 s13, v9
	s_and_b64 s[12:13], s[8:9], s[12:13]
	s_mul_i32 s14, s13, 24
	s_mul_hi_u32 s15, s12, 24
	s_mul_i32 s16, s12, 24
	s_add_i32 s15, s15, s14
	s_waitcnt vmcnt(0)
	v_add_co_u32 v8, vcc_lo, v0, s16
	v_add_co_ci_u32_e32 v9, vcc_lo, s15, v1, vcc_lo
	s_and_saveexec_b32 s14, s4
	s_cbranch_execz .LBB4_1137
; %bb.1136:
	v_mov_b32_e32 v4, s5
	v_mov_b32_e32 v6, 2
	v_mov_b32_e32 v7, 1
	global_store_dwordx4 v[8:9], v[4:7], off offset:8
.LBB4_1137:
	s_or_b32 exec_lo, exec_lo, s14
	s_lshl_b64 s[12:13], s[12:13], 12
	v_mov_b32_e32 v4, 33
	v_add_co_u32 v2, vcc_lo, v2, s12
	v_add_co_ci_u32_e32 v3, vcc_lo, s13, v3, vcc_lo
	s_mov_b32 s12, 0
	v_add_co_u32 v10, vcc_lo, v2, v36
	s_mov_b32 s13, s12
	s_mov_b32 s14, s12
	;; [unrolled: 1-line block ×3, first 2 shown]
	v_mov_b32_e32 v6, v5
	v_mov_b32_e32 v7, v5
	v_readfirstlane_b32 s16, v2
	v_readfirstlane_b32 s17, v3
	v_mov_b32_e32 v12, s12
	v_add_co_ci_u32_e32 v11, vcc_lo, 0, v3, vcc_lo
	v_mov_b32_e32 v13, s13
	v_mov_b32_e32 v14, s14
	;; [unrolled: 1-line block ×3, first 2 shown]
	global_store_dwordx4 v36, v[4:7], s[16:17]
	global_store_dwordx4 v36, v[12:15], s[16:17] offset:16
	global_store_dwordx4 v36, v[12:15], s[16:17] offset:32
	;; [unrolled: 1-line block ×3, first 2 shown]
	s_and_saveexec_b32 s5, s4
	s_cbranch_execz .LBB4_1145
; %bb.1138:
	v_mov_b32_e32 v6, 0
	v_mov_b32_e32 v12, s8
	;; [unrolled: 1-line block ×3, first 2 shown]
	s_clause 0x1
	global_load_dwordx2 v[14:15], v6, s[26:27] offset:32 glc dlc
	global_load_dwordx2 v[2:3], v6, s[26:27] offset:40
	s_waitcnt vmcnt(0)
	v_readfirstlane_b32 s12, v2
	v_readfirstlane_b32 s13, v3
	s_and_b64 s[12:13], s[12:13], s[8:9]
	s_mul_i32 s13, s13, 24
	s_mul_hi_u32 s14, s12, 24
	s_mul_i32 s12, s12, 24
	s_add_i32 s14, s14, s13
	v_add_co_u32 v4, vcc_lo, v0, s12
	v_add_co_ci_u32_e32 v5, vcc_lo, s14, v1, vcc_lo
	s_mov_b32 s12, exec_lo
	global_store_dwordx2 v[4:5], v[14:15], off
	s_waitcnt_vscnt null, 0x0
	global_atomic_cmpswap_x2 v[2:3], v6, v[12:15], s[26:27] offset:32 glc
	s_waitcnt vmcnt(0)
	v_cmpx_ne_u64_e64 v[2:3], v[14:15]
	s_cbranch_execz .LBB4_1141
; %bb.1139:
	s_mov_b32 s13, 0
.LBB4_1140:                             ; =>This Inner Loop Header: Depth=1
	v_mov_b32_e32 v0, s8
	v_mov_b32_e32 v1, s9
	s_sleep 1
	global_store_dwordx2 v[4:5], v[2:3], off
	s_waitcnt_vscnt null, 0x0
	global_atomic_cmpswap_x2 v[0:1], v6, v[0:3], s[26:27] offset:32 glc
	s_waitcnt vmcnt(0)
	v_cmp_eq_u64_e32 vcc_lo, v[0:1], v[2:3]
	v_mov_b32_e32 v3, v1
	v_mov_b32_e32 v2, v0
	s_or_b32 s13, vcc_lo, s13
	s_andn2_b32 exec_lo, exec_lo, s13
	s_cbranch_execnz .LBB4_1140
.LBB4_1141:
	s_or_b32 exec_lo, exec_lo, s12
	v_mov_b32_e32 v3, 0
	s_mov_b32 s13, exec_lo
	s_mov_b32 s12, exec_lo
	v_mbcnt_lo_u32_b32 v2, s13, 0
	global_load_dwordx2 v[0:1], v3, s[26:27] offset:16
	v_cmpx_eq_u32_e32 0, v2
	s_cbranch_execz .LBB4_1143
; %bb.1142:
	s_bcnt1_i32_b32 s13, s13
	v_mov_b32_e32 v2, s13
	s_waitcnt vmcnt(0)
	global_atomic_add_x2 v[0:1], v[2:3], off offset:8
.LBB4_1143:
	s_or_b32 exec_lo, exec_lo, s12
	s_waitcnt vmcnt(0)
	global_load_dwordx2 v[2:3], v[0:1], off offset:16
	s_waitcnt vmcnt(0)
	v_cmp_eq_u64_e32 vcc_lo, 0, v[2:3]
	s_cbranch_vccnz .LBB4_1145
; %bb.1144:
	global_load_dword v0, v[0:1], off offset:24
	v_mov_b32_e32 v1, 0
	s_waitcnt vmcnt(0)
	v_and_b32_e32 v4, 0x7fffff, v0
	s_waitcnt_vscnt null, 0x0
	global_store_dwordx2 v[2:3], v[0:1], off
	v_readfirstlane_b32 m0, v4
	s_sendmsg sendmsg(MSG_INTERRUPT)
.LBB4_1145:
	s_or_b32 exec_lo, exec_lo, s5
	s_branch .LBB4_1149
	.p2align	6
.LBB4_1146:                             ;   in Loop: Header=BB4_1149 Depth=1
	s_or_b32 exec_lo, exec_lo, s5
	v_readfirstlane_b32 s5, v0
	s_cmp_eq_u32 s5, 0
	s_cbranch_scc1 .LBB4_1148
; %bb.1147:                             ;   in Loop: Header=BB4_1149 Depth=1
	s_sleep 1
	s_cbranch_execnz .LBB4_1149
	s_branch .LBB4_1151
	.p2align	6
.LBB4_1148:
	s_branch .LBB4_1151
.LBB4_1149:                             ; =>This Inner Loop Header: Depth=1
	v_mov_b32_e32 v0, 1
	s_and_saveexec_b32 s5, s4
	s_cbranch_execz .LBB4_1146
; %bb.1150:                             ;   in Loop: Header=BB4_1149 Depth=1
	global_load_dword v0, v[8:9], off offset:20 glc dlc
	s_waitcnt vmcnt(0)
	buffer_gl1_inv
	buffer_gl0_inv
	v_and_b32_e32 v0, 1, v0
	s_branch .LBB4_1146
.LBB4_1151:
	global_load_dwordx2 v[0:1], v[10:11], off
	s_and_saveexec_b32 s5, s4
	s_cbranch_execz .LBB4_1155
; %bb.1152:
	v_mov_b32_e32 v8, 0
	s_clause 0x2
	global_load_dwordx2 v[4:5], v8, s[26:27] offset:40
	global_load_dwordx2 v[9:10], v8, s[26:27] offset:24 glc dlc
	global_load_dwordx2 v[6:7], v8, s[26:27]
	s_waitcnt vmcnt(2)
	v_add_co_u32 v11, vcc_lo, v4, 1
	v_add_co_ci_u32_e32 v12, vcc_lo, 0, v5, vcc_lo
	v_add_co_u32 v2, vcc_lo, v11, s8
	v_add_co_ci_u32_e32 v3, vcc_lo, s9, v12, vcc_lo
	v_cmp_eq_u64_e32 vcc_lo, 0, v[2:3]
	v_cndmask_b32_e32 v3, v3, v12, vcc_lo
	v_cndmask_b32_e32 v2, v2, v11, vcc_lo
	v_and_b32_e32 v5, v3, v5
	v_and_b32_e32 v4, v2, v4
	v_mul_lo_u32 v5, v5, 24
	v_mul_hi_u32 v11, v4, 24
	v_mul_lo_u32 v4, v4, 24
	v_add_nc_u32_e32 v5, v11, v5
	s_waitcnt vmcnt(0)
	v_add_co_u32 v6, vcc_lo, v6, v4
	v_mov_b32_e32 v4, v9
	v_add_co_ci_u32_e32 v7, vcc_lo, v7, v5, vcc_lo
	v_mov_b32_e32 v5, v10
	global_store_dwordx2 v[6:7], v[9:10], off
	s_waitcnt_vscnt null, 0x0
	global_atomic_cmpswap_x2 v[4:5], v8, v[2:5], s[26:27] offset:24 glc
	s_waitcnt vmcnt(0)
	v_cmp_ne_u64_e32 vcc_lo, v[4:5], v[9:10]
	s_and_b32 exec_lo, exec_lo, vcc_lo
	s_cbranch_execz .LBB4_1155
; %bb.1153:
	s_mov_b32 s4, 0
.LBB4_1154:                             ; =>This Inner Loop Header: Depth=1
	s_sleep 1
	global_store_dwordx2 v[6:7], v[4:5], off
	s_waitcnt_vscnt null, 0x0
	global_atomic_cmpswap_x2 v[9:10], v8, v[2:5], s[26:27] offset:24 glc
	s_waitcnt vmcnt(0)
	v_cmp_eq_u64_e32 vcc_lo, v[9:10], v[4:5]
	v_mov_b32_e32 v4, v9
	v_mov_b32_e32 v5, v10
	s_or_b32 s4, vcc_lo, s4
	s_andn2_b32 exec_lo, exec_lo, s4
	s_cbranch_execnz .LBB4_1154
.LBB4_1155:
	s_or_b32 exec_lo, exec_lo, s5
	s_and_b32 vcc_lo, exec_lo, s34
	s_cbranch_vccz .LBB4_1234
; %bb.1156:
	s_waitcnt vmcnt(0)
	v_and_b32_e32 v31, 2, v0
	v_mov_b32_e32 v6, 0
	v_and_b32_e32 v2, -3, v0
	v_mov_b32_e32 v3, v1
	v_mov_b32_e32 v7, 2
	v_mov_b32_e32 v8, 1
	s_mov_b64 s[12:13], 3
	s_getpc_b64 s[8:9]
	s_add_u32 s8, s8, .str.6@rel32@lo+4
	s_addc_u32 s9, s9, .str.6@rel32@hi+12
	s_branch .LBB4_1158
.LBB4_1157:                             ;   in Loop: Header=BB4_1158 Depth=1
	s_or_b32 exec_lo, exec_lo, s5
	s_sub_u32 s12, s12, s14
	s_subb_u32 s13, s13, s15
	s_add_u32 s8, s8, s14
	s_addc_u32 s9, s9, s15
	s_cmp_lg_u64 s[12:13], 0
	s_cbranch_scc0 .LBB4_1233
.LBB4_1158:                             ; =>This Loop Header: Depth=1
                                        ;     Child Loop BB4_1167 Depth 2
                                        ;     Child Loop BB4_1163 Depth 2
	;; [unrolled: 1-line block ×11, first 2 shown]
	v_cmp_lt_u64_e64 s4, s[12:13], 56
	v_cmp_gt_u64_e64 s5, s[12:13], 7
                                        ; implicit-def: $vgpr11_vgpr12
                                        ; implicit-def: $sgpr22
	s_and_b32 s4, s4, exec_lo
	s_cselect_b32 s15, s13, 0
	s_cselect_b32 s14, s12, 56
	s_and_b32 vcc_lo, exec_lo, s5
	s_mov_b32 s4, -1
	s_cbranch_vccz .LBB4_1165
; %bb.1159:                             ;   in Loop: Header=BB4_1158 Depth=1
	s_andn2_b32 vcc_lo, exec_lo, s4
	s_mov_b64 s[4:5], s[8:9]
	s_cbranch_vccz .LBB4_1169
.LBB4_1160:                             ;   in Loop: Header=BB4_1158 Depth=1
	s_cmp_gt_u32 s22, 7
	s_cbranch_scc1 .LBB4_1170
.LBB4_1161:                             ;   in Loop: Header=BB4_1158 Depth=1
	v_mov_b32_e32 v13, 0
	v_mov_b32_e32 v14, 0
	s_cmp_eq_u32 s22, 0
	s_cbranch_scc1 .LBB4_1164
; %bb.1162:                             ;   in Loop: Header=BB4_1158 Depth=1
	s_mov_b64 s[16:17], 0
	s_mov_b64 s[18:19], 0
.LBB4_1163:                             ;   Parent Loop BB4_1158 Depth=1
                                        ; =>  This Inner Loop Header: Depth=2
	s_add_u32 s24, s4, s18
	s_addc_u32 s25, s5, s19
	s_add_u32 s18, s18, 1
	global_load_ubyte v4, v6, s[24:25]
	s_addc_u32 s19, s19, 0
	s_waitcnt vmcnt(0)
	v_and_b32_e32 v5, 0xffff, v4
	v_lshlrev_b64 v[4:5], s16, v[5:6]
	s_add_u32 s16, s16, 8
	s_addc_u32 s17, s17, 0
	s_cmp_lg_u32 s22, s18
	v_or_b32_e32 v13, v4, v13
	v_or_b32_e32 v14, v5, v14
	s_cbranch_scc1 .LBB4_1163
.LBB4_1164:                             ;   in Loop: Header=BB4_1158 Depth=1
	s_mov_b32 s23, 0
	s_cbranch_execz .LBB4_1171
	s_branch .LBB4_1172
.LBB4_1165:                             ;   in Loop: Header=BB4_1158 Depth=1
	v_mov_b32_e32 v11, 0
	v_mov_b32_e32 v12, 0
	s_cmp_eq_u64 s[12:13], 0
	s_mov_b64 s[4:5], 0
	s_cbranch_scc1 .LBB4_1168
; %bb.1166:                             ;   in Loop: Header=BB4_1158 Depth=1
	v_mov_b32_e32 v11, 0
	v_mov_b32_e32 v12, 0
	s_lshl_b64 s[16:17], s[14:15], 3
	s_mov_b64 s[18:19], s[8:9]
.LBB4_1167:                             ;   Parent Loop BB4_1158 Depth=1
                                        ; =>  This Inner Loop Header: Depth=2
	global_load_ubyte v4, v6, s[18:19]
	s_waitcnt vmcnt(0)
	v_and_b32_e32 v5, 0xffff, v4
	v_lshlrev_b64 v[4:5], s4, v[5:6]
	s_add_u32 s4, s4, 8
	s_addc_u32 s5, s5, 0
	s_add_u32 s18, s18, 1
	s_addc_u32 s19, s19, 0
	s_cmp_lg_u32 s16, s4
	v_or_b32_e32 v11, v4, v11
	v_or_b32_e32 v12, v5, v12
	s_cbranch_scc1 .LBB4_1167
.LBB4_1168:                             ;   in Loop: Header=BB4_1158 Depth=1
	s_mov_b32 s22, 0
	s_mov_b64 s[4:5], s[8:9]
	s_cbranch_execnz .LBB4_1160
.LBB4_1169:                             ;   in Loop: Header=BB4_1158 Depth=1
	global_load_dwordx2 v[11:12], v6, s[8:9]
	s_add_i32 s22, s14, -8
	s_add_u32 s4, s8, 8
	s_addc_u32 s5, s9, 0
	s_cmp_gt_u32 s22, 7
	s_cbranch_scc0 .LBB4_1161
.LBB4_1170:                             ;   in Loop: Header=BB4_1158 Depth=1
                                        ; implicit-def: $vgpr13_vgpr14
                                        ; implicit-def: $sgpr23
.LBB4_1171:                             ;   in Loop: Header=BB4_1158 Depth=1
	global_load_dwordx2 v[13:14], v6, s[4:5]
	s_add_i32 s23, s22, -8
	s_add_u32 s4, s4, 8
	s_addc_u32 s5, s5, 0
.LBB4_1172:                             ;   in Loop: Header=BB4_1158 Depth=1
	s_cmp_gt_u32 s23, 7
	s_cbranch_scc1 .LBB4_1177
; %bb.1173:                             ;   in Loop: Header=BB4_1158 Depth=1
	v_mov_b32_e32 v15, 0
	v_mov_b32_e32 v16, 0
	s_cmp_eq_u32 s23, 0
	s_cbranch_scc1 .LBB4_1176
; %bb.1174:                             ;   in Loop: Header=BB4_1158 Depth=1
	s_mov_b64 s[16:17], 0
	s_mov_b64 s[18:19], 0
.LBB4_1175:                             ;   Parent Loop BB4_1158 Depth=1
                                        ; =>  This Inner Loop Header: Depth=2
	s_add_u32 s24, s4, s18
	s_addc_u32 s25, s5, s19
	s_add_u32 s18, s18, 1
	global_load_ubyte v4, v6, s[24:25]
	s_addc_u32 s19, s19, 0
	s_waitcnt vmcnt(0)
	v_and_b32_e32 v5, 0xffff, v4
	v_lshlrev_b64 v[4:5], s16, v[5:6]
	s_add_u32 s16, s16, 8
	s_addc_u32 s17, s17, 0
	s_cmp_lg_u32 s23, s18
	v_or_b32_e32 v15, v4, v15
	v_or_b32_e32 v16, v5, v16
	s_cbranch_scc1 .LBB4_1175
.LBB4_1176:                             ;   in Loop: Header=BB4_1158 Depth=1
	s_mov_b32 s22, 0
	s_cbranch_execz .LBB4_1178
	s_branch .LBB4_1179
.LBB4_1177:                             ;   in Loop: Header=BB4_1158 Depth=1
                                        ; implicit-def: $sgpr22
.LBB4_1178:                             ;   in Loop: Header=BB4_1158 Depth=1
	global_load_dwordx2 v[15:16], v6, s[4:5]
	s_add_i32 s22, s23, -8
	s_add_u32 s4, s4, 8
	s_addc_u32 s5, s5, 0
.LBB4_1179:                             ;   in Loop: Header=BB4_1158 Depth=1
	s_cmp_gt_u32 s22, 7
	s_cbranch_scc1 .LBB4_1184
; %bb.1180:                             ;   in Loop: Header=BB4_1158 Depth=1
	v_mov_b32_e32 v17, 0
	v_mov_b32_e32 v18, 0
	s_cmp_eq_u32 s22, 0
	s_cbranch_scc1 .LBB4_1183
; %bb.1181:                             ;   in Loop: Header=BB4_1158 Depth=1
	s_mov_b64 s[16:17], 0
	s_mov_b64 s[18:19], 0
.LBB4_1182:                             ;   Parent Loop BB4_1158 Depth=1
                                        ; =>  This Inner Loop Header: Depth=2
	s_add_u32 s24, s4, s18
	s_addc_u32 s25, s5, s19
	s_add_u32 s18, s18, 1
	global_load_ubyte v4, v6, s[24:25]
	s_addc_u32 s19, s19, 0
	s_waitcnt vmcnt(0)
	v_and_b32_e32 v5, 0xffff, v4
	v_lshlrev_b64 v[4:5], s16, v[5:6]
	s_add_u32 s16, s16, 8
	s_addc_u32 s17, s17, 0
	s_cmp_lg_u32 s22, s18
	v_or_b32_e32 v17, v4, v17
	v_or_b32_e32 v18, v5, v18
	s_cbranch_scc1 .LBB4_1182
.LBB4_1183:                             ;   in Loop: Header=BB4_1158 Depth=1
	s_mov_b32 s23, 0
	s_cbranch_execz .LBB4_1185
	s_branch .LBB4_1186
.LBB4_1184:                             ;   in Loop: Header=BB4_1158 Depth=1
                                        ; implicit-def: $vgpr17_vgpr18
                                        ; implicit-def: $sgpr23
.LBB4_1185:                             ;   in Loop: Header=BB4_1158 Depth=1
	global_load_dwordx2 v[17:18], v6, s[4:5]
	s_add_i32 s23, s22, -8
	s_add_u32 s4, s4, 8
	s_addc_u32 s5, s5, 0
.LBB4_1186:                             ;   in Loop: Header=BB4_1158 Depth=1
	s_cmp_gt_u32 s23, 7
	s_cbranch_scc1 .LBB4_1191
; %bb.1187:                             ;   in Loop: Header=BB4_1158 Depth=1
	v_mov_b32_e32 v19, 0
	v_mov_b32_e32 v20, 0
	s_cmp_eq_u32 s23, 0
	s_cbranch_scc1 .LBB4_1190
; %bb.1188:                             ;   in Loop: Header=BB4_1158 Depth=1
	s_mov_b64 s[16:17], 0
	s_mov_b64 s[18:19], 0
.LBB4_1189:                             ;   Parent Loop BB4_1158 Depth=1
                                        ; =>  This Inner Loop Header: Depth=2
	s_add_u32 s24, s4, s18
	s_addc_u32 s25, s5, s19
	s_add_u32 s18, s18, 1
	global_load_ubyte v4, v6, s[24:25]
	s_addc_u32 s19, s19, 0
	s_waitcnt vmcnt(0)
	v_and_b32_e32 v5, 0xffff, v4
	v_lshlrev_b64 v[4:5], s16, v[5:6]
	s_add_u32 s16, s16, 8
	s_addc_u32 s17, s17, 0
	s_cmp_lg_u32 s23, s18
	v_or_b32_e32 v19, v4, v19
	v_or_b32_e32 v20, v5, v20
	s_cbranch_scc1 .LBB4_1189
.LBB4_1190:                             ;   in Loop: Header=BB4_1158 Depth=1
	s_mov_b32 s22, 0
	s_cbranch_execz .LBB4_1192
	s_branch .LBB4_1193
.LBB4_1191:                             ;   in Loop: Header=BB4_1158 Depth=1
                                        ; implicit-def: $sgpr22
.LBB4_1192:                             ;   in Loop: Header=BB4_1158 Depth=1
	global_load_dwordx2 v[19:20], v6, s[4:5]
	s_add_i32 s22, s23, -8
	s_add_u32 s4, s4, 8
	s_addc_u32 s5, s5, 0
.LBB4_1193:                             ;   in Loop: Header=BB4_1158 Depth=1
	s_cmp_gt_u32 s22, 7
	s_cbranch_scc1 .LBB4_1198
; %bb.1194:                             ;   in Loop: Header=BB4_1158 Depth=1
	v_mov_b32_e32 v21, 0
	v_mov_b32_e32 v22, 0
	s_cmp_eq_u32 s22, 0
	s_cbranch_scc1 .LBB4_1197
; %bb.1195:                             ;   in Loop: Header=BB4_1158 Depth=1
	s_mov_b64 s[16:17], 0
	s_mov_b64 s[18:19], 0
.LBB4_1196:                             ;   Parent Loop BB4_1158 Depth=1
                                        ; =>  This Inner Loop Header: Depth=2
	s_add_u32 s24, s4, s18
	s_addc_u32 s25, s5, s19
	s_add_u32 s18, s18, 1
	global_load_ubyte v4, v6, s[24:25]
	s_addc_u32 s19, s19, 0
	s_waitcnt vmcnt(0)
	v_and_b32_e32 v5, 0xffff, v4
	v_lshlrev_b64 v[4:5], s16, v[5:6]
	s_add_u32 s16, s16, 8
	s_addc_u32 s17, s17, 0
	s_cmp_lg_u32 s22, s18
	v_or_b32_e32 v21, v4, v21
	v_or_b32_e32 v22, v5, v22
	s_cbranch_scc1 .LBB4_1196
.LBB4_1197:                             ;   in Loop: Header=BB4_1158 Depth=1
	s_mov_b32 s23, 0
	s_cbranch_execz .LBB4_1199
	s_branch .LBB4_1200
.LBB4_1198:                             ;   in Loop: Header=BB4_1158 Depth=1
                                        ; implicit-def: $vgpr21_vgpr22
                                        ; implicit-def: $sgpr23
.LBB4_1199:                             ;   in Loop: Header=BB4_1158 Depth=1
	global_load_dwordx2 v[21:22], v6, s[4:5]
	s_add_i32 s23, s22, -8
	s_add_u32 s4, s4, 8
	s_addc_u32 s5, s5, 0
.LBB4_1200:                             ;   in Loop: Header=BB4_1158 Depth=1
	s_cmp_gt_u32 s23, 7
	s_cbranch_scc1 .LBB4_1205
; %bb.1201:                             ;   in Loop: Header=BB4_1158 Depth=1
	v_mov_b32_e32 v23, 0
	v_mov_b32_e32 v24, 0
	s_cmp_eq_u32 s23, 0
	s_cbranch_scc1 .LBB4_1204
; %bb.1202:                             ;   in Loop: Header=BB4_1158 Depth=1
	s_mov_b64 s[16:17], 0
	s_mov_b64 s[18:19], s[4:5]
.LBB4_1203:                             ;   Parent Loop BB4_1158 Depth=1
                                        ; =>  This Inner Loop Header: Depth=2
	global_load_ubyte v4, v6, s[18:19]
	s_add_i32 s23, s23, -1
	s_waitcnt vmcnt(0)
	v_and_b32_e32 v5, 0xffff, v4
	v_lshlrev_b64 v[4:5], s16, v[5:6]
	s_add_u32 s16, s16, 8
	s_addc_u32 s17, s17, 0
	s_add_u32 s18, s18, 1
	s_addc_u32 s19, s19, 0
	s_cmp_lg_u32 s23, 0
	v_or_b32_e32 v23, v4, v23
	v_or_b32_e32 v24, v5, v24
	s_cbranch_scc1 .LBB4_1203
.LBB4_1204:                             ;   in Loop: Header=BB4_1158 Depth=1
	s_cbranch_execz .LBB4_1206
	s_branch .LBB4_1207
.LBB4_1205:                             ;   in Loop: Header=BB4_1158 Depth=1
.LBB4_1206:                             ;   in Loop: Header=BB4_1158 Depth=1
	global_load_dwordx2 v[23:24], v6, s[4:5]
.LBB4_1207:                             ;   in Loop: Header=BB4_1158 Depth=1
	v_readfirstlane_b32 s4, v37
	s_waitcnt vmcnt(0)
	v_mov_b32_e32 v4, 0
	v_mov_b32_e32 v5, 0
	v_cmp_eq_u32_e64 s4, s4, v37
	s_and_saveexec_b32 s5, s4
	s_cbranch_execz .LBB4_1213
; %bb.1208:                             ;   in Loop: Header=BB4_1158 Depth=1
	global_load_dwordx2 v[27:28], v6, s[26:27] offset:24 glc dlc
	s_waitcnt vmcnt(0)
	buffer_gl1_inv
	buffer_gl0_inv
	s_clause 0x1
	global_load_dwordx2 v[4:5], v6, s[26:27] offset:40
	global_load_dwordx2 v[9:10], v6, s[26:27]
	s_mov_b32 s16, exec_lo
	s_waitcnt vmcnt(1)
	v_and_b32_e32 v5, v5, v28
	v_and_b32_e32 v4, v4, v27
	v_mul_lo_u32 v5, v5, 24
	v_mul_hi_u32 v25, v4, 24
	v_mul_lo_u32 v4, v4, 24
	v_add_nc_u32_e32 v5, v25, v5
	s_waitcnt vmcnt(0)
	v_add_co_u32 v4, vcc_lo, v9, v4
	v_add_co_ci_u32_e32 v5, vcc_lo, v10, v5, vcc_lo
	global_load_dwordx2 v[25:26], v[4:5], off glc dlc
	s_waitcnt vmcnt(0)
	global_atomic_cmpswap_x2 v[4:5], v6, v[25:28], s[26:27] offset:24 glc
	s_waitcnt vmcnt(0)
	buffer_gl1_inv
	buffer_gl0_inv
	v_cmpx_ne_u64_e64 v[4:5], v[27:28]
	s_cbranch_execz .LBB4_1212
; %bb.1209:                             ;   in Loop: Header=BB4_1158 Depth=1
	s_mov_b32 s17, 0
	.p2align	6
.LBB4_1210:                             ;   Parent Loop BB4_1158 Depth=1
                                        ; =>  This Inner Loop Header: Depth=2
	s_sleep 1
	s_clause 0x1
	global_load_dwordx2 v[9:10], v6, s[26:27] offset:40
	global_load_dwordx2 v[25:26], v6, s[26:27]
	v_mov_b32_e32 v28, v5
	v_mov_b32_e32 v27, v4
	s_waitcnt vmcnt(1)
	v_and_b32_e32 v4, v9, v27
	v_and_b32_e32 v9, v10, v28
	s_waitcnt vmcnt(0)
	v_mad_u64_u32 v[4:5], null, v4, 24, v[25:26]
	v_mad_u64_u32 v[9:10], null, v9, 24, v[5:6]
	v_mov_b32_e32 v5, v9
	global_load_dwordx2 v[25:26], v[4:5], off glc dlc
	s_waitcnt vmcnt(0)
	global_atomic_cmpswap_x2 v[4:5], v6, v[25:28], s[26:27] offset:24 glc
	s_waitcnt vmcnt(0)
	buffer_gl1_inv
	buffer_gl0_inv
	v_cmp_eq_u64_e32 vcc_lo, v[4:5], v[27:28]
	s_or_b32 s17, vcc_lo, s17
	s_andn2_b32 exec_lo, exec_lo, s17
	s_cbranch_execnz .LBB4_1210
; %bb.1211:                             ;   in Loop: Header=BB4_1158 Depth=1
	s_or_b32 exec_lo, exec_lo, s17
.LBB4_1212:                             ;   in Loop: Header=BB4_1158 Depth=1
	s_or_b32 exec_lo, exec_lo, s16
.LBB4_1213:                             ;   in Loop: Header=BB4_1158 Depth=1
	s_or_b32 exec_lo, exec_lo, s5
	s_clause 0x1
	global_load_dwordx2 v[9:10], v6, s[26:27] offset:40
	global_load_dwordx4 v[25:28], v6, s[26:27]
	v_readfirstlane_b32 s16, v4
	v_readfirstlane_b32 s17, v5
	s_mov_b32 s5, exec_lo
	s_waitcnt vmcnt(1)
	v_readfirstlane_b32 s18, v9
	v_readfirstlane_b32 s19, v10
	s_and_b64 s[18:19], s[16:17], s[18:19]
	s_mul_i32 s22, s19, 24
	s_mul_hi_u32 s23, s18, 24
	s_mul_i32 s24, s18, 24
	s_add_i32 s23, s23, s22
	s_waitcnt vmcnt(0)
	v_add_co_u32 v29, vcc_lo, v25, s24
	v_add_co_ci_u32_e32 v30, vcc_lo, s23, v26, vcc_lo
	s_and_saveexec_b32 s22, s4
	s_cbranch_execz .LBB4_1215
; %bb.1214:                             ;   in Loop: Header=BB4_1158 Depth=1
	v_mov_b32_e32 v5, s5
	global_store_dwordx4 v[29:30], v[5:8], off offset:8
.LBB4_1215:                             ;   in Loop: Header=BB4_1158 Depth=1
	s_or_b32 exec_lo, exec_lo, s22
	s_lshl_b64 s[18:19], s[18:19], 12
	v_cmp_gt_u64_e64 vcc_lo, s[12:13], 56
	v_or_b32_e32 v5, v2, v31
	v_add_co_u32 v27, s5, v27, s18
	v_add_co_ci_u32_e64 v28, s5, s19, v28, s5
	s_lshl_b32 s5, s14, 2
	v_or_b32_e32 v4, 0, v3
	v_cndmask_b32_e32 v2, v5, v2, vcc_lo
	s_add_i32 s5, s5, 28
	v_readfirstlane_b32 s18, v27
	s_and_b32 s5, s5, 0x1e0
	v_cndmask_b32_e32 v10, v4, v3, vcc_lo
	v_readfirstlane_b32 s19, v28
	v_and_or_b32 v9, 0xffffff1f, v2, s5
	global_store_dwordx4 v36, v[9:12], s[18:19]
	global_store_dwordx4 v36, v[13:16], s[18:19] offset:16
	global_store_dwordx4 v36, v[17:20], s[18:19] offset:32
	;; [unrolled: 1-line block ×3, first 2 shown]
	s_and_saveexec_b32 s5, s4
	s_cbranch_execz .LBB4_1223
; %bb.1216:                             ;   in Loop: Header=BB4_1158 Depth=1
	s_clause 0x1
	global_load_dwordx2 v[13:14], v6, s[26:27] offset:32 glc dlc
	global_load_dwordx2 v[2:3], v6, s[26:27] offset:40
	v_mov_b32_e32 v11, s16
	v_mov_b32_e32 v12, s17
	s_waitcnt vmcnt(0)
	v_readfirstlane_b32 s18, v2
	v_readfirstlane_b32 s19, v3
	s_and_b64 s[18:19], s[18:19], s[16:17]
	s_mul_i32 s19, s19, 24
	s_mul_hi_u32 s22, s18, 24
	s_mul_i32 s18, s18, 24
	s_add_i32 s22, s22, s19
	v_add_co_u32 v9, vcc_lo, v25, s18
	v_add_co_ci_u32_e32 v10, vcc_lo, s22, v26, vcc_lo
	s_mov_b32 s18, exec_lo
	global_store_dwordx2 v[9:10], v[13:14], off
	s_waitcnt_vscnt null, 0x0
	global_atomic_cmpswap_x2 v[4:5], v6, v[11:14], s[26:27] offset:32 glc
	s_waitcnt vmcnt(0)
	v_cmpx_ne_u64_e64 v[4:5], v[13:14]
	s_cbranch_execz .LBB4_1219
; %bb.1217:                             ;   in Loop: Header=BB4_1158 Depth=1
	s_mov_b32 s19, 0
.LBB4_1218:                             ;   Parent Loop BB4_1158 Depth=1
                                        ; =>  This Inner Loop Header: Depth=2
	v_mov_b32_e32 v2, s16
	v_mov_b32_e32 v3, s17
	s_sleep 1
	global_store_dwordx2 v[9:10], v[4:5], off
	s_waitcnt_vscnt null, 0x0
	global_atomic_cmpswap_x2 v[2:3], v6, v[2:5], s[26:27] offset:32 glc
	s_waitcnt vmcnt(0)
	v_cmp_eq_u64_e32 vcc_lo, v[2:3], v[4:5]
	v_mov_b32_e32 v5, v3
	v_mov_b32_e32 v4, v2
	s_or_b32 s19, vcc_lo, s19
	s_andn2_b32 exec_lo, exec_lo, s19
	s_cbranch_execnz .LBB4_1218
.LBB4_1219:                             ;   in Loop: Header=BB4_1158 Depth=1
	s_or_b32 exec_lo, exec_lo, s18
	global_load_dwordx2 v[2:3], v6, s[26:27] offset:16
	s_mov_b32 s19, exec_lo
	s_mov_b32 s18, exec_lo
	v_mbcnt_lo_u32_b32 v4, s19, 0
	v_cmpx_eq_u32_e32 0, v4
	s_cbranch_execz .LBB4_1221
; %bb.1220:                             ;   in Loop: Header=BB4_1158 Depth=1
	s_bcnt1_i32_b32 s19, s19
	v_mov_b32_e32 v5, s19
	s_waitcnt vmcnt(0)
	global_atomic_add_x2 v[2:3], v[5:6], off offset:8
.LBB4_1221:                             ;   in Loop: Header=BB4_1158 Depth=1
	s_or_b32 exec_lo, exec_lo, s18
	s_waitcnt vmcnt(0)
	global_load_dwordx2 v[9:10], v[2:3], off offset:16
	s_waitcnt vmcnt(0)
	v_cmp_eq_u64_e32 vcc_lo, 0, v[9:10]
	s_cbranch_vccnz .LBB4_1223
; %bb.1222:                             ;   in Loop: Header=BB4_1158 Depth=1
	global_load_dword v5, v[2:3], off offset:24
	s_waitcnt vmcnt(0)
	v_and_b32_e32 v2, 0x7fffff, v5
	s_waitcnt_vscnt null, 0x0
	global_store_dwordx2 v[9:10], v[5:6], off
	v_readfirstlane_b32 m0, v2
	s_sendmsg sendmsg(MSG_INTERRUPT)
.LBB4_1223:                             ;   in Loop: Header=BB4_1158 Depth=1
	s_or_b32 exec_lo, exec_lo, s5
	v_add_co_u32 v2, vcc_lo, v27, v36
	v_add_co_ci_u32_e32 v3, vcc_lo, 0, v28, vcc_lo
	s_branch .LBB4_1227
	.p2align	6
.LBB4_1224:                             ;   in Loop: Header=BB4_1227 Depth=2
	s_or_b32 exec_lo, exec_lo, s5
	v_readfirstlane_b32 s5, v4
	s_cmp_eq_u32 s5, 0
	s_cbranch_scc1 .LBB4_1226
; %bb.1225:                             ;   in Loop: Header=BB4_1227 Depth=2
	s_sleep 1
	s_cbranch_execnz .LBB4_1227
	s_branch .LBB4_1229
	.p2align	6
.LBB4_1226:                             ;   in Loop: Header=BB4_1158 Depth=1
	s_branch .LBB4_1229
.LBB4_1227:                             ;   Parent Loop BB4_1158 Depth=1
                                        ; =>  This Inner Loop Header: Depth=2
	v_mov_b32_e32 v4, 1
	s_and_saveexec_b32 s5, s4
	s_cbranch_execz .LBB4_1224
; %bb.1228:                             ;   in Loop: Header=BB4_1227 Depth=2
	global_load_dword v4, v[29:30], off offset:20 glc dlc
	s_waitcnt vmcnt(0)
	buffer_gl1_inv
	buffer_gl0_inv
	v_and_b32_e32 v4, 1, v4
	s_branch .LBB4_1224
.LBB4_1229:                             ;   in Loop: Header=BB4_1158 Depth=1
	global_load_dwordx4 v[2:5], v[2:3], off
	s_and_saveexec_b32 s5, s4
	s_cbranch_execz .LBB4_1157
; %bb.1230:                             ;   in Loop: Header=BB4_1158 Depth=1
	s_clause 0x2
	global_load_dwordx2 v[4:5], v6, s[26:27] offset:40
	global_load_dwordx2 v[13:14], v6, s[26:27] offset:24 glc dlc
	global_load_dwordx2 v[11:12], v6, s[26:27]
	s_waitcnt vmcnt(2)
	v_add_co_u32 v15, vcc_lo, v4, 1
	v_add_co_ci_u32_e32 v16, vcc_lo, 0, v5, vcc_lo
	v_add_co_u32 v9, vcc_lo, v15, s16
	v_add_co_ci_u32_e32 v10, vcc_lo, s17, v16, vcc_lo
	v_cmp_eq_u64_e32 vcc_lo, 0, v[9:10]
	v_cndmask_b32_e32 v10, v10, v16, vcc_lo
	v_cndmask_b32_e32 v9, v9, v15, vcc_lo
	v_and_b32_e32 v5, v10, v5
	v_and_b32_e32 v4, v9, v4
	v_mul_lo_u32 v5, v5, 24
	v_mul_hi_u32 v15, v4, 24
	v_mul_lo_u32 v4, v4, 24
	v_add_nc_u32_e32 v5, v15, v5
	s_waitcnt vmcnt(0)
	v_add_co_u32 v4, vcc_lo, v11, v4
	v_mov_b32_e32 v11, v13
	v_add_co_ci_u32_e32 v5, vcc_lo, v12, v5, vcc_lo
	v_mov_b32_e32 v12, v14
	global_store_dwordx2 v[4:5], v[13:14], off
	s_waitcnt_vscnt null, 0x0
	global_atomic_cmpswap_x2 v[11:12], v6, v[9:12], s[26:27] offset:24 glc
	s_waitcnt vmcnt(0)
	v_cmp_ne_u64_e32 vcc_lo, v[11:12], v[13:14]
	s_and_b32 exec_lo, exec_lo, vcc_lo
	s_cbranch_execz .LBB4_1157
; %bb.1231:                             ;   in Loop: Header=BB4_1158 Depth=1
	s_mov_b32 s4, 0
.LBB4_1232:                             ;   Parent Loop BB4_1158 Depth=1
                                        ; =>  This Inner Loop Header: Depth=2
	s_sleep 1
	global_store_dwordx2 v[4:5], v[11:12], off
	s_waitcnt_vscnt null, 0x0
	global_atomic_cmpswap_x2 v[13:14], v6, v[9:12], s[26:27] offset:24 glc
	s_waitcnt vmcnt(0)
	v_cmp_eq_u64_e32 vcc_lo, v[13:14], v[11:12]
	v_mov_b32_e32 v11, v13
	v_mov_b32_e32 v12, v14
	s_or_b32 s4, vcc_lo, s4
	s_andn2_b32 exec_lo, exec_lo, s4
	s_cbranch_execnz .LBB4_1232
	s_branch .LBB4_1157
.LBB4_1233:
	s_branch .LBB4_1262
.LBB4_1234:
                                        ; implicit-def: $vgpr2_vgpr3
	s_cbranch_execz .LBB4_1262
; %bb.1235:
	v_readfirstlane_b32 s4, v37
	v_mov_b32_e32 v8, 0
	v_mov_b32_e32 v9, 0
	v_cmp_eq_u32_e64 s4, s4, v37
	s_and_saveexec_b32 s5, s4
	s_cbranch_execz .LBB4_1241
; %bb.1236:
	s_waitcnt vmcnt(0)
	v_mov_b32_e32 v2, 0
	s_mov_b32 s8, exec_lo
	global_load_dwordx2 v[5:6], v2, s[26:27] offset:24 glc dlc
	s_waitcnt vmcnt(0)
	buffer_gl1_inv
	buffer_gl0_inv
	s_clause 0x1
	global_load_dwordx2 v[3:4], v2, s[26:27] offset:40
	global_load_dwordx2 v[7:8], v2, s[26:27]
	s_waitcnt vmcnt(1)
	v_and_b32_e32 v4, v4, v6
	v_and_b32_e32 v3, v3, v5
	v_mul_lo_u32 v4, v4, 24
	v_mul_hi_u32 v9, v3, 24
	v_mul_lo_u32 v3, v3, 24
	v_add_nc_u32_e32 v4, v9, v4
	s_waitcnt vmcnt(0)
	v_add_co_u32 v3, vcc_lo, v7, v3
	v_add_co_ci_u32_e32 v4, vcc_lo, v8, v4, vcc_lo
	global_load_dwordx2 v[3:4], v[3:4], off glc dlc
	s_waitcnt vmcnt(0)
	global_atomic_cmpswap_x2 v[8:9], v2, v[3:6], s[26:27] offset:24 glc
	s_waitcnt vmcnt(0)
	buffer_gl1_inv
	buffer_gl0_inv
	v_cmpx_ne_u64_e64 v[8:9], v[5:6]
	s_cbranch_execz .LBB4_1240
; %bb.1237:
	s_mov_b32 s9, 0
.LBB4_1238:                             ; =>This Inner Loop Header: Depth=1
	s_sleep 1
	s_clause 0x1
	global_load_dwordx2 v[3:4], v2, s[26:27] offset:40
	global_load_dwordx2 v[10:11], v2, s[26:27]
	v_mov_b32_e32 v5, v8
	v_mov_b32_e32 v6, v9
	s_waitcnt vmcnt(1)
	v_and_b32_e32 v3, v3, v5
	v_and_b32_e32 v4, v4, v6
	s_waitcnt vmcnt(0)
	v_mad_u64_u32 v[7:8], null, v3, 24, v[10:11]
	v_mov_b32_e32 v3, v8
	v_mad_u64_u32 v[3:4], null, v4, 24, v[3:4]
	v_mov_b32_e32 v8, v3
	global_load_dwordx2 v[3:4], v[7:8], off glc dlc
	s_waitcnt vmcnt(0)
	global_atomic_cmpswap_x2 v[8:9], v2, v[3:6], s[26:27] offset:24 glc
	s_waitcnt vmcnt(0)
	buffer_gl1_inv
	buffer_gl0_inv
	v_cmp_eq_u64_e32 vcc_lo, v[8:9], v[5:6]
	s_or_b32 s9, vcc_lo, s9
	s_andn2_b32 exec_lo, exec_lo, s9
	s_cbranch_execnz .LBB4_1238
; %bb.1239:
	s_or_b32 exec_lo, exec_lo, s9
.LBB4_1240:
	s_or_b32 exec_lo, exec_lo, s8
.LBB4_1241:
	s_or_b32 exec_lo, exec_lo, s5
	s_waitcnt vmcnt(0)
	v_mov_b32_e32 v2, 0
	v_readfirstlane_b32 s8, v8
	v_readfirstlane_b32 s9, v9
	s_mov_b32 s5, exec_lo
	s_clause 0x1
	global_load_dwordx2 v[10:11], v2, s[26:27] offset:40
	global_load_dwordx4 v[4:7], v2, s[26:27]
	s_waitcnt vmcnt(1)
	v_readfirstlane_b32 s12, v10
	v_readfirstlane_b32 s13, v11
	s_and_b64 s[12:13], s[8:9], s[12:13]
	s_mul_i32 s14, s13, 24
	s_mul_hi_u32 s15, s12, 24
	s_mul_i32 s16, s12, 24
	s_add_i32 s15, s15, s14
	s_waitcnt vmcnt(0)
	v_add_co_u32 v8, vcc_lo, v4, s16
	v_add_co_ci_u32_e32 v9, vcc_lo, s15, v5, vcc_lo
	s_and_saveexec_b32 s14, s4
	s_cbranch_execz .LBB4_1243
; %bb.1242:
	v_mov_b32_e32 v10, s5
	v_mov_b32_e32 v11, v2
	;; [unrolled: 1-line block ×4, first 2 shown]
	global_store_dwordx4 v[8:9], v[10:13], off offset:8
.LBB4_1243:
	s_or_b32 exec_lo, exec_lo, s14
	s_lshl_b64 s[12:13], s[12:13], 12
	v_and_or_b32 v0, 0xffffff1f, v0, 32
	v_add_co_u32 v6, vcc_lo, v6, s12
	v_add_co_ci_u32_e32 v7, vcc_lo, s13, v7, vcc_lo
	s_mov_b32 s12, 0
	v_readfirstlane_b32 s16, v6
	v_add_co_u32 v6, vcc_lo, v6, v36
	s_mov_b32 s13, s12
	s_mov_b32 s14, s12
	;; [unrolled: 1-line block ×3, first 2 shown]
	v_mov_b32_e32 v3, v2
	v_readfirstlane_b32 s17, v7
	v_mov_b32_e32 v10, s12
	v_add_co_ci_u32_e32 v7, vcc_lo, 0, v7, vcc_lo
	v_mov_b32_e32 v11, s13
	v_mov_b32_e32 v12, s14
	;; [unrolled: 1-line block ×3, first 2 shown]
	global_store_dwordx4 v36, v[0:3], s[16:17]
	global_store_dwordx4 v36, v[10:13], s[16:17] offset:16
	global_store_dwordx4 v36, v[10:13], s[16:17] offset:32
	;; [unrolled: 1-line block ×3, first 2 shown]
	s_and_saveexec_b32 s5, s4
	s_cbranch_execz .LBB4_1251
; %bb.1244:
	v_mov_b32_e32 v10, 0
	v_mov_b32_e32 v11, s8
	;; [unrolled: 1-line block ×3, first 2 shown]
	s_clause 0x1
	global_load_dwordx2 v[13:14], v10, s[26:27] offset:32 glc dlc
	global_load_dwordx2 v[0:1], v10, s[26:27] offset:40
	s_waitcnt vmcnt(0)
	v_readfirstlane_b32 s12, v0
	v_readfirstlane_b32 s13, v1
	s_and_b64 s[12:13], s[12:13], s[8:9]
	s_mul_i32 s13, s13, 24
	s_mul_hi_u32 s14, s12, 24
	s_mul_i32 s12, s12, 24
	s_add_i32 s14, s14, s13
	v_add_co_u32 v4, vcc_lo, v4, s12
	v_add_co_ci_u32_e32 v5, vcc_lo, s14, v5, vcc_lo
	s_mov_b32 s12, exec_lo
	global_store_dwordx2 v[4:5], v[13:14], off
	s_waitcnt_vscnt null, 0x0
	global_atomic_cmpswap_x2 v[2:3], v10, v[11:14], s[26:27] offset:32 glc
	s_waitcnt vmcnt(0)
	v_cmpx_ne_u64_e64 v[2:3], v[13:14]
	s_cbranch_execz .LBB4_1247
; %bb.1245:
	s_mov_b32 s13, 0
.LBB4_1246:                             ; =>This Inner Loop Header: Depth=1
	v_mov_b32_e32 v0, s8
	v_mov_b32_e32 v1, s9
	s_sleep 1
	global_store_dwordx2 v[4:5], v[2:3], off
	s_waitcnt_vscnt null, 0x0
	global_atomic_cmpswap_x2 v[0:1], v10, v[0:3], s[26:27] offset:32 glc
	s_waitcnt vmcnt(0)
	v_cmp_eq_u64_e32 vcc_lo, v[0:1], v[2:3]
	v_mov_b32_e32 v3, v1
	v_mov_b32_e32 v2, v0
	s_or_b32 s13, vcc_lo, s13
	s_andn2_b32 exec_lo, exec_lo, s13
	s_cbranch_execnz .LBB4_1246
.LBB4_1247:
	s_or_b32 exec_lo, exec_lo, s12
	v_mov_b32_e32 v3, 0
	s_mov_b32 s13, exec_lo
	s_mov_b32 s12, exec_lo
	v_mbcnt_lo_u32_b32 v2, s13, 0
	global_load_dwordx2 v[0:1], v3, s[26:27] offset:16
	v_cmpx_eq_u32_e32 0, v2
	s_cbranch_execz .LBB4_1249
; %bb.1248:
	s_bcnt1_i32_b32 s13, s13
	v_mov_b32_e32 v2, s13
	s_waitcnt vmcnt(0)
	global_atomic_add_x2 v[0:1], v[2:3], off offset:8
.LBB4_1249:
	s_or_b32 exec_lo, exec_lo, s12
	s_waitcnt vmcnt(0)
	global_load_dwordx2 v[2:3], v[0:1], off offset:16
	s_waitcnt vmcnt(0)
	v_cmp_eq_u64_e32 vcc_lo, 0, v[2:3]
	s_cbranch_vccnz .LBB4_1251
; %bb.1250:
	global_load_dword v0, v[0:1], off offset:24
	v_mov_b32_e32 v1, 0
	s_waitcnt vmcnt(0)
	v_and_b32_e32 v4, 0x7fffff, v0
	s_waitcnt_vscnt null, 0x0
	global_store_dwordx2 v[2:3], v[0:1], off
	v_readfirstlane_b32 m0, v4
	s_sendmsg sendmsg(MSG_INTERRUPT)
.LBB4_1251:
	s_or_b32 exec_lo, exec_lo, s5
	s_branch .LBB4_1255
	.p2align	6
.LBB4_1252:                             ;   in Loop: Header=BB4_1255 Depth=1
	s_or_b32 exec_lo, exec_lo, s5
	v_readfirstlane_b32 s5, v0
	s_cmp_eq_u32 s5, 0
	s_cbranch_scc1 .LBB4_1254
; %bb.1253:                             ;   in Loop: Header=BB4_1255 Depth=1
	s_sleep 1
	s_cbranch_execnz .LBB4_1255
	s_branch .LBB4_1257
	.p2align	6
.LBB4_1254:
	s_branch .LBB4_1257
.LBB4_1255:                             ; =>This Inner Loop Header: Depth=1
	v_mov_b32_e32 v0, 1
	s_and_saveexec_b32 s5, s4
	s_cbranch_execz .LBB4_1252
; %bb.1256:                             ;   in Loop: Header=BB4_1255 Depth=1
	global_load_dword v0, v[8:9], off offset:20 glc dlc
	s_waitcnt vmcnt(0)
	buffer_gl1_inv
	buffer_gl0_inv
	v_and_b32_e32 v0, 1, v0
	s_branch .LBB4_1252
.LBB4_1257:
	global_load_dwordx2 v[2:3], v[6:7], off
	s_and_saveexec_b32 s5, s4
	s_cbranch_execz .LBB4_1261
; %bb.1258:
	v_mov_b32_e32 v8, 0
	s_clause 0x2
	global_load_dwordx2 v[0:1], v8, s[26:27] offset:40
	global_load_dwordx2 v[9:10], v8, s[26:27] offset:24 glc dlc
	global_load_dwordx2 v[6:7], v8, s[26:27]
	s_waitcnt vmcnt(2)
	v_add_co_u32 v11, vcc_lo, v0, 1
	v_add_co_ci_u32_e32 v12, vcc_lo, 0, v1, vcc_lo
	v_add_co_u32 v4, vcc_lo, v11, s8
	v_add_co_ci_u32_e32 v5, vcc_lo, s9, v12, vcc_lo
	v_cmp_eq_u64_e32 vcc_lo, 0, v[4:5]
	v_cndmask_b32_e32 v5, v5, v12, vcc_lo
	v_cndmask_b32_e32 v4, v4, v11, vcc_lo
	v_and_b32_e32 v1, v5, v1
	v_and_b32_e32 v0, v4, v0
	v_mul_lo_u32 v1, v1, 24
	v_mul_hi_u32 v11, v0, 24
	v_mul_lo_u32 v0, v0, 24
	v_add_nc_u32_e32 v1, v11, v1
	s_waitcnt vmcnt(0)
	v_add_co_u32 v0, vcc_lo, v6, v0
	v_mov_b32_e32 v6, v9
	v_add_co_ci_u32_e32 v1, vcc_lo, v7, v1, vcc_lo
	v_mov_b32_e32 v7, v10
	global_store_dwordx2 v[0:1], v[9:10], off
	s_waitcnt_vscnt null, 0x0
	global_atomic_cmpswap_x2 v[6:7], v8, v[4:7], s[26:27] offset:24 glc
	s_waitcnt vmcnt(0)
	v_cmp_ne_u64_e32 vcc_lo, v[6:7], v[9:10]
	s_and_b32 exec_lo, exec_lo, vcc_lo
	s_cbranch_execz .LBB4_1261
; %bb.1259:
	s_mov_b32 s4, 0
.LBB4_1260:                             ; =>This Inner Loop Header: Depth=1
	s_sleep 1
	global_store_dwordx2 v[0:1], v[6:7], off
	s_waitcnt_vscnt null, 0x0
	global_atomic_cmpswap_x2 v[9:10], v8, v[4:7], s[26:27] offset:24 glc
	s_waitcnt vmcnt(0)
	v_cmp_eq_u64_e32 vcc_lo, v[9:10], v[6:7]
	v_mov_b32_e32 v6, v9
	v_mov_b32_e32 v7, v10
	s_or_b32 s4, vcc_lo, s4
	s_andn2_b32 exec_lo, exec_lo, s4
	s_cbranch_execnz .LBB4_1260
.LBB4_1261:
	s_or_b32 exec_lo, exec_lo, s5
.LBB4_1262:
	v_readfirstlane_b32 s4, v37
	s_waitcnt vmcnt(0)
	v_mov_b32_e32 v0, 0
	v_mov_b32_e32 v1, 0
	v_cmp_eq_u32_e64 s4, s4, v37
	s_and_saveexec_b32 s5, s4
	s_cbranch_execz .LBB4_1268
; %bb.1263:
	v_mov_b32_e32 v4, 0
	s_mov_b32 s8, exec_lo
	global_load_dwordx2 v[7:8], v4, s[26:27] offset:24 glc dlc
	s_waitcnt vmcnt(0)
	buffer_gl1_inv
	buffer_gl0_inv
	s_clause 0x1
	global_load_dwordx2 v[0:1], v4, s[26:27] offset:40
	global_load_dwordx2 v[5:6], v4, s[26:27]
	s_waitcnt vmcnt(1)
	v_and_b32_e32 v1, v1, v8
	v_and_b32_e32 v0, v0, v7
	v_mul_lo_u32 v1, v1, 24
	v_mul_hi_u32 v9, v0, 24
	v_mul_lo_u32 v0, v0, 24
	v_add_nc_u32_e32 v1, v9, v1
	s_waitcnt vmcnt(0)
	v_add_co_u32 v0, vcc_lo, v5, v0
	v_add_co_ci_u32_e32 v1, vcc_lo, v6, v1, vcc_lo
	global_load_dwordx2 v[5:6], v[0:1], off glc dlc
	s_waitcnt vmcnt(0)
	global_atomic_cmpswap_x2 v[0:1], v4, v[5:8], s[26:27] offset:24 glc
	s_waitcnt vmcnt(0)
	buffer_gl1_inv
	buffer_gl0_inv
	v_cmpx_ne_u64_e64 v[0:1], v[7:8]
	s_cbranch_execz .LBB4_1267
; %bb.1264:
	s_mov_b32 s9, 0
	.p2align	6
.LBB4_1265:                             ; =>This Inner Loop Header: Depth=1
	s_sleep 1
	s_clause 0x1
	global_load_dwordx2 v[5:6], v4, s[26:27] offset:40
	global_load_dwordx2 v[9:10], v4, s[26:27]
	v_mov_b32_e32 v8, v1
	v_mov_b32_e32 v7, v0
	s_waitcnt vmcnt(1)
	v_and_b32_e32 v0, v5, v7
	v_and_b32_e32 v5, v6, v8
	s_waitcnt vmcnt(0)
	v_mad_u64_u32 v[0:1], null, v0, 24, v[9:10]
	v_mad_u64_u32 v[5:6], null, v5, 24, v[1:2]
	v_mov_b32_e32 v1, v5
	global_load_dwordx2 v[5:6], v[0:1], off glc dlc
	s_waitcnt vmcnt(0)
	global_atomic_cmpswap_x2 v[0:1], v4, v[5:8], s[26:27] offset:24 glc
	s_waitcnt vmcnt(0)
	buffer_gl1_inv
	buffer_gl0_inv
	v_cmp_eq_u64_e32 vcc_lo, v[0:1], v[7:8]
	s_or_b32 s9, vcc_lo, s9
	s_andn2_b32 exec_lo, exec_lo, s9
	s_cbranch_execnz .LBB4_1265
; %bb.1266:
	s_or_b32 exec_lo, exec_lo, s9
.LBB4_1267:
	s_or_b32 exec_lo, exec_lo, s8
.LBB4_1268:
	s_or_b32 exec_lo, exec_lo, s5
	v_mov_b32_e32 v5, 0
	v_readfirstlane_b32 s8, v0
	v_readfirstlane_b32 s9, v1
	s_mov_b32 s5, exec_lo
	s_clause 0x1
	global_load_dwordx2 v[10:11], v5, s[26:27] offset:40
	global_load_dwordx4 v[6:9], v5, s[26:27]
	s_waitcnt vmcnt(1)
	v_readfirstlane_b32 s12, v10
	v_readfirstlane_b32 s13, v11
	s_and_b64 s[12:13], s[8:9], s[12:13]
	s_mul_i32 s14, s13, 24
	s_mul_hi_u32 s15, s12, 24
	s_mul_i32 s16, s12, 24
	s_add_i32 s15, s15, s14
	s_waitcnt vmcnt(0)
	v_add_co_u32 v10, vcc_lo, v6, s16
	v_add_co_ci_u32_e32 v11, vcc_lo, s15, v7, vcc_lo
	s_and_saveexec_b32 s14, s4
	s_cbranch_execz .LBB4_1270
; %bb.1269:
	v_mov_b32_e32 v4, s5
	v_mov_b32_e32 v13, v5
	;; [unrolled: 1-line block ×5, first 2 shown]
	global_store_dwordx4 v[10:11], v[12:15], off offset:8
.LBB4_1270:
	s_or_b32 exec_lo, exec_lo, s14
	s_lshl_b64 s[12:13], s[12:13], 12
	v_and_or_b32 v2, 0xffffff1d, v2, 34
	v_add_co_u32 v0, vcc_lo, v8, s12
	v_add_co_ci_u32_e32 v1, vcc_lo, s13, v9, vcc_lo
	s_mov_b32 s12, 0
	v_mov_b32_e32 v4, 10
	s_mov_b32 s13, s12
	s_mov_b32 s14, s12
	;; [unrolled: 1-line block ×3, first 2 shown]
	v_readfirstlane_b32 s16, v0
	v_readfirstlane_b32 s17, v1
	v_mov_b32_e32 v12, s12
	v_mov_b32_e32 v13, s13
	;; [unrolled: 1-line block ×4, first 2 shown]
	global_store_dwordx4 v36, v[2:5], s[16:17]
	global_store_dwordx4 v36, v[12:15], s[16:17] offset:16
	global_store_dwordx4 v36, v[12:15], s[16:17] offset:32
	;; [unrolled: 1-line block ×3, first 2 shown]
	s_and_saveexec_b32 s5, s4
	s_cbranch_execz .LBB4_1278
; %bb.1271:
	v_mov_b32_e32 v8, 0
	v_mov_b32_e32 v12, s8
	;; [unrolled: 1-line block ×3, first 2 shown]
	s_clause 0x1
	global_load_dwordx2 v[14:15], v8, s[26:27] offset:32 glc dlc
	global_load_dwordx2 v[0:1], v8, s[26:27] offset:40
	s_waitcnt vmcnt(0)
	v_readfirstlane_b32 s12, v0
	v_readfirstlane_b32 s13, v1
	s_and_b64 s[12:13], s[12:13], s[8:9]
	s_mul_i32 s13, s13, 24
	s_mul_hi_u32 s14, s12, 24
	s_mul_i32 s12, s12, 24
	s_add_i32 s14, s14, s13
	v_add_co_u32 v4, vcc_lo, v6, s12
	v_add_co_ci_u32_e32 v5, vcc_lo, s14, v7, vcc_lo
	s_mov_b32 s12, exec_lo
	global_store_dwordx2 v[4:5], v[14:15], off
	s_waitcnt_vscnt null, 0x0
	global_atomic_cmpswap_x2 v[2:3], v8, v[12:15], s[26:27] offset:32 glc
	s_waitcnt vmcnt(0)
	v_cmpx_ne_u64_e64 v[2:3], v[14:15]
	s_cbranch_execz .LBB4_1274
; %bb.1272:
	s_mov_b32 s13, 0
.LBB4_1273:                             ; =>This Inner Loop Header: Depth=1
	v_mov_b32_e32 v0, s8
	v_mov_b32_e32 v1, s9
	s_sleep 1
	global_store_dwordx2 v[4:5], v[2:3], off
	s_waitcnt_vscnt null, 0x0
	global_atomic_cmpswap_x2 v[0:1], v8, v[0:3], s[26:27] offset:32 glc
	s_waitcnt vmcnt(0)
	v_cmp_eq_u64_e32 vcc_lo, v[0:1], v[2:3]
	v_mov_b32_e32 v3, v1
	v_mov_b32_e32 v2, v0
	s_or_b32 s13, vcc_lo, s13
	s_andn2_b32 exec_lo, exec_lo, s13
	s_cbranch_execnz .LBB4_1273
.LBB4_1274:
	s_or_b32 exec_lo, exec_lo, s12
	v_mov_b32_e32 v3, 0
	s_mov_b32 s13, exec_lo
	s_mov_b32 s12, exec_lo
	v_mbcnt_lo_u32_b32 v2, s13, 0
	global_load_dwordx2 v[0:1], v3, s[26:27] offset:16
	v_cmpx_eq_u32_e32 0, v2
	s_cbranch_execz .LBB4_1276
; %bb.1275:
	s_bcnt1_i32_b32 s13, s13
	v_mov_b32_e32 v2, s13
	s_waitcnt vmcnt(0)
	global_atomic_add_x2 v[0:1], v[2:3], off offset:8
.LBB4_1276:
	s_or_b32 exec_lo, exec_lo, s12
	s_waitcnt vmcnt(0)
	global_load_dwordx2 v[2:3], v[0:1], off offset:16
	s_waitcnt vmcnt(0)
	v_cmp_eq_u64_e32 vcc_lo, 0, v[2:3]
	s_cbranch_vccnz .LBB4_1278
; %bb.1277:
	global_load_dword v0, v[0:1], off offset:24
	v_mov_b32_e32 v1, 0
	s_waitcnt vmcnt(0)
	v_and_b32_e32 v4, 0x7fffff, v0
	s_waitcnt_vscnt null, 0x0
	global_store_dwordx2 v[2:3], v[0:1], off
	v_readfirstlane_b32 m0, v4
	s_sendmsg sendmsg(MSG_INTERRUPT)
.LBB4_1278:
	s_or_b32 exec_lo, exec_lo, s5
	s_branch .LBB4_1282
	.p2align	6
.LBB4_1279:                             ;   in Loop: Header=BB4_1282 Depth=1
	s_or_b32 exec_lo, exec_lo, s5
	v_readfirstlane_b32 s5, v0
	s_cmp_eq_u32 s5, 0
	s_cbranch_scc1 .LBB4_1281
; %bb.1280:                             ;   in Loop: Header=BB4_1282 Depth=1
	s_sleep 1
	s_cbranch_execnz .LBB4_1282
	s_branch .LBB4_1284
	.p2align	6
.LBB4_1281:
	s_branch .LBB4_1284
.LBB4_1282:                             ; =>This Inner Loop Header: Depth=1
	v_mov_b32_e32 v0, 1
	s_and_saveexec_b32 s5, s4
	s_cbranch_execz .LBB4_1279
; %bb.1283:                             ;   in Loop: Header=BB4_1282 Depth=1
	global_load_dword v0, v[10:11], off offset:20 glc dlc
	s_waitcnt vmcnt(0)
	buffer_gl1_inv
	buffer_gl0_inv
	v_and_b32_e32 v0, 1, v0
	s_branch .LBB4_1279
.LBB4_1284:
	s_and_saveexec_b32 s5, s4
	s_cbranch_execz .LBB4_1288
; %bb.1285:
	v_mov_b32_e32 v6, 0
	s_clause 0x2
	global_load_dwordx2 v[2:3], v6, s[26:27] offset:40
	global_load_dwordx2 v[7:8], v6, s[26:27] offset:24 glc dlc
	global_load_dwordx2 v[4:5], v6, s[26:27]
	s_waitcnt vmcnt(2)
	v_add_co_u32 v9, vcc_lo, v2, 1
	v_add_co_ci_u32_e32 v10, vcc_lo, 0, v3, vcc_lo
	v_add_co_u32 v0, vcc_lo, v9, s8
	v_add_co_ci_u32_e32 v1, vcc_lo, s9, v10, vcc_lo
	v_cmp_eq_u64_e32 vcc_lo, 0, v[0:1]
	v_cndmask_b32_e32 v1, v1, v10, vcc_lo
	v_cndmask_b32_e32 v0, v0, v9, vcc_lo
	v_and_b32_e32 v3, v1, v3
	v_and_b32_e32 v2, v0, v2
	v_mul_lo_u32 v3, v3, 24
	v_mul_hi_u32 v9, v2, 24
	v_mul_lo_u32 v2, v2, 24
	v_add_nc_u32_e32 v3, v9, v3
	s_waitcnt vmcnt(0)
	v_add_co_u32 v4, vcc_lo, v4, v2
	v_mov_b32_e32 v2, v7
	v_add_co_ci_u32_e32 v5, vcc_lo, v5, v3, vcc_lo
	v_mov_b32_e32 v3, v8
	global_store_dwordx2 v[4:5], v[7:8], off
	s_waitcnt_vscnt null, 0x0
	global_atomic_cmpswap_x2 v[2:3], v6, v[0:3], s[26:27] offset:24 glc
	s_waitcnt vmcnt(0)
	v_cmp_ne_u64_e32 vcc_lo, v[2:3], v[7:8]
	s_and_b32 exec_lo, exec_lo, vcc_lo
	s_cbranch_execz .LBB4_1288
; %bb.1286:
	s_mov_b32 s4, 0
.LBB4_1287:                             ; =>This Inner Loop Header: Depth=1
	s_sleep 1
	global_store_dwordx2 v[4:5], v[2:3], off
	s_waitcnt_vscnt null, 0x0
	global_atomic_cmpswap_x2 v[7:8], v6, v[0:3], s[26:27] offset:24 glc
	s_waitcnt vmcnt(0)
	v_cmp_eq_u64_e32 vcc_lo, v[7:8], v[2:3]
	v_mov_b32_e32 v2, v7
	v_mov_b32_e32 v3, v8
	s_or_b32 s4, vcc_lo, s4
	s_andn2_b32 exec_lo, exec_lo, s4
	s_cbranch_execnz .LBB4_1287
.LBB4_1288:
	s_or_b32 exec_lo, exec_lo, s5
	v_readfirstlane_b32 s4, v37
	v_mov_b32_e32 v6, 0
	v_mov_b32_e32 v7, 0
	v_cmp_eq_u32_e64 s4, s4, v37
	s_and_saveexec_b32 s5, s4
	s_cbranch_execz .LBB4_1294
; %bb.1289:
	v_mov_b32_e32 v0, 0
	s_mov_b32 s8, exec_lo
	global_load_dwordx2 v[3:4], v0, s[26:27] offset:24 glc dlc
	s_waitcnt vmcnt(0)
	buffer_gl1_inv
	buffer_gl0_inv
	s_clause 0x1
	global_load_dwordx2 v[1:2], v0, s[26:27] offset:40
	global_load_dwordx2 v[5:6], v0, s[26:27]
	s_waitcnt vmcnt(1)
	v_and_b32_e32 v2, v2, v4
	v_and_b32_e32 v1, v1, v3
	v_mul_lo_u32 v2, v2, 24
	v_mul_hi_u32 v7, v1, 24
	v_mul_lo_u32 v1, v1, 24
	v_add_nc_u32_e32 v2, v7, v2
	s_waitcnt vmcnt(0)
	v_add_co_u32 v1, vcc_lo, v5, v1
	v_add_co_ci_u32_e32 v2, vcc_lo, v6, v2, vcc_lo
	global_load_dwordx2 v[1:2], v[1:2], off glc dlc
	s_waitcnt vmcnt(0)
	global_atomic_cmpswap_x2 v[6:7], v0, v[1:4], s[26:27] offset:24 glc
	s_waitcnt vmcnt(0)
	buffer_gl1_inv
	buffer_gl0_inv
	v_cmpx_ne_u64_e64 v[6:7], v[3:4]
	s_cbranch_execz .LBB4_1293
; %bb.1290:
	s_mov_b32 s9, 0
	.p2align	6
.LBB4_1291:                             ; =>This Inner Loop Header: Depth=1
	s_sleep 1
	s_clause 0x1
	global_load_dwordx2 v[1:2], v0, s[26:27] offset:40
	global_load_dwordx2 v[8:9], v0, s[26:27]
	v_mov_b32_e32 v3, v6
	v_mov_b32_e32 v4, v7
	s_waitcnt vmcnt(1)
	v_and_b32_e32 v1, v1, v3
	v_and_b32_e32 v2, v2, v4
	s_waitcnt vmcnt(0)
	v_mad_u64_u32 v[5:6], null, v1, 24, v[8:9]
	v_mov_b32_e32 v1, v6
	v_mad_u64_u32 v[1:2], null, v2, 24, v[1:2]
	v_mov_b32_e32 v6, v1
	global_load_dwordx2 v[1:2], v[5:6], off glc dlc
	s_waitcnt vmcnt(0)
	global_atomic_cmpswap_x2 v[6:7], v0, v[1:4], s[26:27] offset:24 glc
	s_waitcnt vmcnt(0)
	buffer_gl1_inv
	buffer_gl0_inv
	v_cmp_eq_u64_e32 vcc_lo, v[6:7], v[3:4]
	s_or_b32 s9, vcc_lo, s9
	s_andn2_b32 exec_lo, exec_lo, s9
	s_cbranch_execnz .LBB4_1291
; %bb.1292:
	s_or_b32 exec_lo, exec_lo, s9
.LBB4_1293:
	s_or_b32 exec_lo, exec_lo, s8
.LBB4_1294:
	s_or_b32 exec_lo, exec_lo, s5
	v_mov_b32_e32 v5, 0
	v_readfirstlane_b32 s8, v6
	v_readfirstlane_b32 s9, v7
	s_mov_b32 s5, exec_lo
	s_clause 0x1
	global_load_dwordx2 v[8:9], v5, s[26:27] offset:40
	global_load_dwordx4 v[0:3], v5, s[26:27]
	s_waitcnt vmcnt(1)
	v_readfirstlane_b32 s12, v8
	v_readfirstlane_b32 s13, v9
	s_and_b64 s[12:13], s[8:9], s[12:13]
	s_mul_i32 s14, s13, 24
	s_mul_hi_u32 s15, s12, 24
	s_mul_i32 s16, s12, 24
	s_add_i32 s15, s15, s14
	s_waitcnt vmcnt(0)
	v_add_co_u32 v8, vcc_lo, v0, s16
	v_add_co_ci_u32_e32 v9, vcc_lo, s15, v1, vcc_lo
	s_and_saveexec_b32 s14, s4
	s_cbranch_execz .LBB4_1296
; %bb.1295:
	v_mov_b32_e32 v4, s5
	v_mov_b32_e32 v6, 2
	;; [unrolled: 1-line block ×3, first 2 shown]
	global_store_dwordx4 v[8:9], v[4:7], off offset:8
.LBB4_1296:
	s_or_b32 exec_lo, exec_lo, s14
	s_lshl_b64 s[12:13], s[12:13], 12
	v_mov_b32_e32 v4, 33
	v_add_co_u32 v2, vcc_lo, v2, s12
	v_add_co_ci_u32_e32 v3, vcc_lo, s13, v3, vcc_lo
	s_mov_b32 s12, 0
	v_add_co_u32 v10, vcc_lo, v2, v36
	s_mov_b32 s13, s12
	s_mov_b32 s14, s12
	;; [unrolled: 1-line block ×3, first 2 shown]
	v_mov_b32_e32 v6, v5
	v_mov_b32_e32 v7, v5
	v_readfirstlane_b32 s16, v2
	v_readfirstlane_b32 s17, v3
	v_mov_b32_e32 v12, s12
	v_add_co_ci_u32_e32 v11, vcc_lo, 0, v3, vcc_lo
	v_mov_b32_e32 v13, s13
	v_mov_b32_e32 v14, s14
	;; [unrolled: 1-line block ×3, first 2 shown]
	global_store_dwordx4 v36, v[4:7], s[16:17]
	global_store_dwordx4 v36, v[12:15], s[16:17] offset:16
	global_store_dwordx4 v36, v[12:15], s[16:17] offset:32
	;; [unrolled: 1-line block ×3, first 2 shown]
	s_and_saveexec_b32 s5, s4
	s_cbranch_execz .LBB4_1304
; %bb.1297:
	v_mov_b32_e32 v6, 0
	v_mov_b32_e32 v12, s8
	;; [unrolled: 1-line block ×3, first 2 shown]
	s_clause 0x1
	global_load_dwordx2 v[14:15], v6, s[26:27] offset:32 glc dlc
	global_load_dwordx2 v[2:3], v6, s[26:27] offset:40
	s_waitcnt vmcnt(0)
	v_readfirstlane_b32 s12, v2
	v_readfirstlane_b32 s13, v3
	s_and_b64 s[12:13], s[12:13], s[8:9]
	s_mul_i32 s13, s13, 24
	s_mul_hi_u32 s14, s12, 24
	s_mul_i32 s12, s12, 24
	s_add_i32 s14, s14, s13
	v_add_co_u32 v4, vcc_lo, v0, s12
	v_add_co_ci_u32_e32 v5, vcc_lo, s14, v1, vcc_lo
	s_mov_b32 s12, exec_lo
	global_store_dwordx2 v[4:5], v[14:15], off
	s_waitcnt_vscnt null, 0x0
	global_atomic_cmpswap_x2 v[2:3], v6, v[12:15], s[26:27] offset:32 glc
	s_waitcnt vmcnt(0)
	v_cmpx_ne_u64_e64 v[2:3], v[14:15]
	s_cbranch_execz .LBB4_1300
; %bb.1298:
	s_mov_b32 s13, 0
.LBB4_1299:                             ; =>This Inner Loop Header: Depth=1
	v_mov_b32_e32 v0, s8
	v_mov_b32_e32 v1, s9
	s_sleep 1
	global_store_dwordx2 v[4:5], v[2:3], off
	s_waitcnt_vscnt null, 0x0
	global_atomic_cmpswap_x2 v[0:1], v6, v[0:3], s[26:27] offset:32 glc
	s_waitcnt vmcnt(0)
	v_cmp_eq_u64_e32 vcc_lo, v[0:1], v[2:3]
	v_mov_b32_e32 v3, v1
	v_mov_b32_e32 v2, v0
	s_or_b32 s13, vcc_lo, s13
	s_andn2_b32 exec_lo, exec_lo, s13
	s_cbranch_execnz .LBB4_1299
.LBB4_1300:
	s_or_b32 exec_lo, exec_lo, s12
	v_mov_b32_e32 v3, 0
	s_mov_b32 s13, exec_lo
	s_mov_b32 s12, exec_lo
	v_mbcnt_lo_u32_b32 v2, s13, 0
	global_load_dwordx2 v[0:1], v3, s[26:27] offset:16
	v_cmpx_eq_u32_e32 0, v2
	s_cbranch_execz .LBB4_1302
; %bb.1301:
	s_bcnt1_i32_b32 s13, s13
	v_mov_b32_e32 v2, s13
	s_waitcnt vmcnt(0)
	global_atomic_add_x2 v[0:1], v[2:3], off offset:8
.LBB4_1302:
	s_or_b32 exec_lo, exec_lo, s12
	s_waitcnt vmcnt(0)
	global_load_dwordx2 v[2:3], v[0:1], off offset:16
	s_waitcnt vmcnt(0)
	v_cmp_eq_u64_e32 vcc_lo, 0, v[2:3]
	s_cbranch_vccnz .LBB4_1304
; %bb.1303:
	global_load_dword v0, v[0:1], off offset:24
	v_mov_b32_e32 v1, 0
	s_waitcnt vmcnt(0)
	v_and_b32_e32 v4, 0x7fffff, v0
	s_waitcnt_vscnt null, 0x0
	global_store_dwordx2 v[2:3], v[0:1], off
	v_readfirstlane_b32 m0, v4
	s_sendmsg sendmsg(MSG_INTERRUPT)
.LBB4_1304:
	s_or_b32 exec_lo, exec_lo, s5
	s_branch .LBB4_1308
	.p2align	6
.LBB4_1305:                             ;   in Loop: Header=BB4_1308 Depth=1
	s_or_b32 exec_lo, exec_lo, s5
	v_readfirstlane_b32 s5, v0
	s_cmp_eq_u32 s5, 0
	s_cbranch_scc1 .LBB4_1307
; %bb.1306:                             ;   in Loop: Header=BB4_1308 Depth=1
	s_sleep 1
	s_cbranch_execnz .LBB4_1308
	s_branch .LBB4_1310
	.p2align	6
.LBB4_1307:
	s_branch .LBB4_1310
.LBB4_1308:                             ; =>This Inner Loop Header: Depth=1
	v_mov_b32_e32 v0, 1
	s_and_saveexec_b32 s5, s4
	s_cbranch_execz .LBB4_1305
; %bb.1309:                             ;   in Loop: Header=BB4_1308 Depth=1
	global_load_dword v0, v[8:9], off offset:20 glc dlc
	s_waitcnt vmcnt(0)
	buffer_gl1_inv
	buffer_gl0_inv
	v_and_b32_e32 v0, 1, v0
	s_branch .LBB4_1305
.LBB4_1310:
	global_load_dwordx2 v[4:5], v[10:11], off
	s_and_saveexec_b32 s5, s4
	s_cbranch_execz .LBB4_1314
; %bb.1311:
	v_mov_b32_e32 v8, 0
	s_clause 0x2
	global_load_dwordx2 v[2:3], v8, s[26:27] offset:40
	global_load_dwordx2 v[9:10], v8, s[26:27] offset:24 glc dlc
	global_load_dwordx2 v[6:7], v8, s[26:27]
	s_waitcnt vmcnt(2)
	v_add_co_u32 v11, vcc_lo, v2, 1
	v_add_co_ci_u32_e32 v12, vcc_lo, 0, v3, vcc_lo
	v_add_co_u32 v0, vcc_lo, v11, s8
	v_add_co_ci_u32_e32 v1, vcc_lo, s9, v12, vcc_lo
	v_cmp_eq_u64_e32 vcc_lo, 0, v[0:1]
	v_cndmask_b32_e32 v1, v1, v12, vcc_lo
	v_cndmask_b32_e32 v0, v0, v11, vcc_lo
	v_and_b32_e32 v3, v1, v3
	v_and_b32_e32 v2, v0, v2
	v_mul_lo_u32 v3, v3, 24
	v_mul_hi_u32 v11, v2, 24
	v_mul_lo_u32 v2, v2, 24
	v_add_nc_u32_e32 v3, v11, v3
	s_waitcnt vmcnt(0)
	v_add_co_u32 v6, vcc_lo, v6, v2
	v_mov_b32_e32 v2, v9
	v_add_co_ci_u32_e32 v7, vcc_lo, v7, v3, vcc_lo
	v_mov_b32_e32 v3, v10
	global_store_dwordx2 v[6:7], v[9:10], off
	s_waitcnt_vscnt null, 0x0
	global_atomic_cmpswap_x2 v[2:3], v8, v[0:3], s[26:27] offset:24 glc
	s_waitcnt vmcnt(0)
	v_cmp_ne_u64_e32 vcc_lo, v[2:3], v[9:10]
	s_and_b32 exec_lo, exec_lo, vcc_lo
	s_cbranch_execz .LBB4_1314
; %bb.1312:
	s_mov_b32 s4, 0
.LBB4_1313:                             ; =>This Inner Loop Header: Depth=1
	s_sleep 1
	global_store_dwordx2 v[6:7], v[2:3], off
	s_waitcnt_vscnt null, 0x0
	global_atomic_cmpswap_x2 v[9:10], v8, v[0:3], s[26:27] offset:24 glc
	s_waitcnt vmcnt(0)
	v_cmp_eq_u64_e32 vcc_lo, v[9:10], v[2:3]
	v_mov_b32_e32 v2, v9
	v_mov_b32_e32 v3, v10
	s_or_b32 s4, vcc_lo, s4
	s_andn2_b32 exec_lo, exec_lo, s4
	s_cbranch_execnz .LBB4_1313
.LBB4_1314:
	s_or_b32 exec_lo, exec_lo, s5
	s_and_b32 vcc_lo, exec_lo, s21
	s_cbranch_vccz .LBB4_1393
; %bb.1315:
	s_waitcnt vmcnt(0)
	v_and_b32_e32 v28, 2, v4
	v_mov_b32_e32 v7, 0
	v_and_b32_e32 v0, -3, v4
	v_mov_b32_e32 v1, v5
	v_mov_b32_e32 v8, 2
	;; [unrolled: 1-line block ×3, first 2 shown]
	s_mov_b64 s[12:13], 3
	s_getpc_b64 s[8:9]
	s_add_u32 s8, s8, .str.5@rel32@lo+4
	s_addc_u32 s9, s9, .str.5@rel32@hi+12
	s_branch .LBB4_1317
.LBB4_1316:                             ;   in Loop: Header=BB4_1317 Depth=1
	s_or_b32 exec_lo, exec_lo, s5
	s_sub_u32 s12, s12, s14
	s_subb_u32 s13, s13, s15
	s_add_u32 s8, s8, s14
	s_addc_u32 s9, s9, s15
	s_cmp_lg_u64 s[12:13], 0
	s_cbranch_scc0 .LBB4_1392
.LBB4_1317:                             ; =>This Loop Header: Depth=1
                                        ;     Child Loop BB4_1326 Depth 2
                                        ;     Child Loop BB4_1322 Depth 2
	;; [unrolled: 1-line block ×11, first 2 shown]
	v_cmp_lt_u64_e64 s4, s[12:13], 56
	v_cmp_gt_u64_e64 s5, s[12:13], 7
                                        ; implicit-def: $vgpr2_vgpr3
                                        ; implicit-def: $sgpr21
	s_and_b32 s4, s4, exec_lo
	s_cselect_b32 s15, s13, 0
	s_cselect_b32 s14, s12, 56
	s_and_b32 vcc_lo, exec_lo, s5
	s_mov_b32 s4, -1
	s_cbranch_vccz .LBB4_1324
; %bb.1318:                             ;   in Loop: Header=BB4_1317 Depth=1
	s_andn2_b32 vcc_lo, exec_lo, s4
	s_mov_b64 s[4:5], s[8:9]
	s_cbranch_vccz .LBB4_1328
.LBB4_1319:                             ;   in Loop: Header=BB4_1317 Depth=1
	s_cmp_gt_u32 s21, 7
	s_cbranch_scc1 .LBB4_1329
.LBB4_1320:                             ;   in Loop: Header=BB4_1317 Depth=1
	v_mov_b32_e32 v10, 0
	v_mov_b32_e32 v11, 0
	s_cmp_eq_u32 s21, 0
	s_cbranch_scc1 .LBB4_1323
; %bb.1321:                             ;   in Loop: Header=BB4_1317 Depth=1
	s_mov_b64 s[16:17], 0
	s_mov_b64 s[18:19], 0
.LBB4_1322:                             ;   Parent Loop BB4_1317 Depth=1
                                        ; =>  This Inner Loop Header: Depth=2
	s_add_u32 s22, s4, s18
	s_addc_u32 s23, s5, s19
	s_add_u32 s18, s18, 1
	global_load_ubyte v6, v7, s[22:23]
	s_addc_u32 s19, s19, 0
	s_waitcnt vmcnt(0)
	v_and_b32_e32 v6, 0xffff, v6
	v_lshlrev_b64 v[12:13], s16, v[6:7]
	s_add_u32 s16, s16, 8
	s_addc_u32 s17, s17, 0
	s_cmp_lg_u32 s21, s18
	v_or_b32_e32 v10, v12, v10
	v_or_b32_e32 v11, v13, v11
	s_cbranch_scc1 .LBB4_1322
.LBB4_1323:                             ;   in Loop: Header=BB4_1317 Depth=1
	s_mov_b32 s22, 0
	s_cbranch_execz .LBB4_1330
	s_branch .LBB4_1331
.LBB4_1324:                             ;   in Loop: Header=BB4_1317 Depth=1
	s_waitcnt vmcnt(0)
	v_mov_b32_e32 v2, 0
	v_mov_b32_e32 v3, 0
	s_cmp_eq_u64 s[12:13], 0
	s_mov_b64 s[4:5], 0
	s_cbranch_scc1 .LBB4_1327
; %bb.1325:                             ;   in Loop: Header=BB4_1317 Depth=1
	v_mov_b32_e32 v2, 0
	v_mov_b32_e32 v3, 0
	s_lshl_b64 s[16:17], s[14:15], 3
	s_mov_b64 s[18:19], s[8:9]
.LBB4_1326:                             ;   Parent Loop BB4_1317 Depth=1
                                        ; =>  This Inner Loop Header: Depth=2
	global_load_ubyte v6, v7, s[18:19]
	s_waitcnt vmcnt(0)
	v_and_b32_e32 v6, 0xffff, v6
	v_lshlrev_b64 v[10:11], s4, v[6:7]
	s_add_u32 s4, s4, 8
	s_addc_u32 s5, s5, 0
	s_add_u32 s18, s18, 1
	s_addc_u32 s19, s19, 0
	s_cmp_lg_u32 s16, s4
	v_or_b32_e32 v2, v10, v2
	v_or_b32_e32 v3, v11, v3
	s_cbranch_scc1 .LBB4_1326
.LBB4_1327:                             ;   in Loop: Header=BB4_1317 Depth=1
	s_mov_b32 s21, 0
	s_mov_b64 s[4:5], s[8:9]
	s_cbranch_execnz .LBB4_1319
.LBB4_1328:                             ;   in Loop: Header=BB4_1317 Depth=1
	global_load_dwordx2 v[2:3], v7, s[8:9]
	s_add_i32 s21, s14, -8
	s_add_u32 s4, s8, 8
	s_addc_u32 s5, s9, 0
	s_cmp_gt_u32 s21, 7
	s_cbranch_scc0 .LBB4_1320
.LBB4_1329:                             ;   in Loop: Header=BB4_1317 Depth=1
                                        ; implicit-def: $vgpr10_vgpr11
                                        ; implicit-def: $sgpr22
.LBB4_1330:                             ;   in Loop: Header=BB4_1317 Depth=1
	global_load_dwordx2 v[10:11], v7, s[4:5]
	s_add_i32 s22, s21, -8
	s_add_u32 s4, s4, 8
	s_addc_u32 s5, s5, 0
.LBB4_1331:                             ;   in Loop: Header=BB4_1317 Depth=1
	s_cmp_gt_u32 s22, 7
	s_cbranch_scc1 .LBB4_1336
; %bb.1332:                             ;   in Loop: Header=BB4_1317 Depth=1
	v_mov_b32_e32 v12, 0
	v_mov_b32_e32 v13, 0
	s_cmp_eq_u32 s22, 0
	s_cbranch_scc1 .LBB4_1335
; %bb.1333:                             ;   in Loop: Header=BB4_1317 Depth=1
	s_mov_b64 s[16:17], 0
	s_mov_b64 s[18:19], 0
.LBB4_1334:                             ;   Parent Loop BB4_1317 Depth=1
                                        ; =>  This Inner Loop Header: Depth=2
	s_add_u32 s24, s4, s18
	s_addc_u32 s25, s5, s19
	s_add_u32 s18, s18, 1
	global_load_ubyte v6, v7, s[24:25]
	s_addc_u32 s19, s19, 0
	s_waitcnt vmcnt(0)
	v_and_b32_e32 v6, 0xffff, v6
	v_lshlrev_b64 v[14:15], s16, v[6:7]
	s_add_u32 s16, s16, 8
	s_addc_u32 s17, s17, 0
	s_cmp_lg_u32 s22, s18
	v_or_b32_e32 v12, v14, v12
	v_or_b32_e32 v13, v15, v13
	s_cbranch_scc1 .LBB4_1334
.LBB4_1335:                             ;   in Loop: Header=BB4_1317 Depth=1
	s_mov_b32 s21, 0
	s_cbranch_execz .LBB4_1337
	s_branch .LBB4_1338
.LBB4_1336:                             ;   in Loop: Header=BB4_1317 Depth=1
                                        ; implicit-def: $sgpr21
.LBB4_1337:                             ;   in Loop: Header=BB4_1317 Depth=1
	global_load_dwordx2 v[12:13], v7, s[4:5]
	s_add_i32 s21, s22, -8
	s_add_u32 s4, s4, 8
	s_addc_u32 s5, s5, 0
.LBB4_1338:                             ;   in Loop: Header=BB4_1317 Depth=1
	s_cmp_gt_u32 s21, 7
	s_cbranch_scc1 .LBB4_1343
; %bb.1339:                             ;   in Loop: Header=BB4_1317 Depth=1
	v_mov_b32_e32 v14, 0
	v_mov_b32_e32 v15, 0
	s_cmp_eq_u32 s21, 0
	s_cbranch_scc1 .LBB4_1342
; %bb.1340:                             ;   in Loop: Header=BB4_1317 Depth=1
	s_mov_b64 s[16:17], 0
	s_mov_b64 s[18:19], 0
.LBB4_1341:                             ;   Parent Loop BB4_1317 Depth=1
                                        ; =>  This Inner Loop Header: Depth=2
	s_add_u32 s22, s4, s18
	s_addc_u32 s23, s5, s19
	s_add_u32 s18, s18, 1
	global_load_ubyte v6, v7, s[22:23]
	s_addc_u32 s19, s19, 0
	s_waitcnt vmcnt(0)
	v_and_b32_e32 v6, 0xffff, v6
	v_lshlrev_b64 v[16:17], s16, v[6:7]
	s_add_u32 s16, s16, 8
	s_addc_u32 s17, s17, 0
	s_cmp_lg_u32 s21, s18
	v_or_b32_e32 v14, v16, v14
	v_or_b32_e32 v15, v17, v15
	s_cbranch_scc1 .LBB4_1341
.LBB4_1342:                             ;   in Loop: Header=BB4_1317 Depth=1
	s_mov_b32 s22, 0
	s_cbranch_execz .LBB4_1344
	s_branch .LBB4_1345
.LBB4_1343:                             ;   in Loop: Header=BB4_1317 Depth=1
                                        ; implicit-def: $vgpr14_vgpr15
                                        ; implicit-def: $sgpr22
.LBB4_1344:                             ;   in Loop: Header=BB4_1317 Depth=1
	global_load_dwordx2 v[14:15], v7, s[4:5]
	s_add_i32 s22, s21, -8
	s_add_u32 s4, s4, 8
	s_addc_u32 s5, s5, 0
.LBB4_1345:                             ;   in Loop: Header=BB4_1317 Depth=1
	s_cmp_gt_u32 s22, 7
	s_cbranch_scc1 .LBB4_1350
; %bb.1346:                             ;   in Loop: Header=BB4_1317 Depth=1
	v_mov_b32_e32 v16, 0
	v_mov_b32_e32 v17, 0
	s_cmp_eq_u32 s22, 0
	s_cbranch_scc1 .LBB4_1349
; %bb.1347:                             ;   in Loop: Header=BB4_1317 Depth=1
	s_mov_b64 s[16:17], 0
	s_mov_b64 s[18:19], 0
.LBB4_1348:                             ;   Parent Loop BB4_1317 Depth=1
                                        ; =>  This Inner Loop Header: Depth=2
	s_add_u32 s24, s4, s18
	s_addc_u32 s25, s5, s19
	s_add_u32 s18, s18, 1
	global_load_ubyte v6, v7, s[24:25]
	s_addc_u32 s19, s19, 0
	s_waitcnt vmcnt(0)
	v_and_b32_e32 v6, 0xffff, v6
	v_lshlrev_b64 v[18:19], s16, v[6:7]
	s_add_u32 s16, s16, 8
	s_addc_u32 s17, s17, 0
	s_cmp_lg_u32 s22, s18
	v_or_b32_e32 v16, v18, v16
	v_or_b32_e32 v17, v19, v17
	s_cbranch_scc1 .LBB4_1348
.LBB4_1349:                             ;   in Loop: Header=BB4_1317 Depth=1
	s_mov_b32 s21, 0
	s_cbranch_execz .LBB4_1351
	s_branch .LBB4_1352
.LBB4_1350:                             ;   in Loop: Header=BB4_1317 Depth=1
                                        ; implicit-def: $sgpr21
.LBB4_1351:                             ;   in Loop: Header=BB4_1317 Depth=1
	global_load_dwordx2 v[16:17], v7, s[4:5]
	s_add_i32 s21, s22, -8
	s_add_u32 s4, s4, 8
	s_addc_u32 s5, s5, 0
.LBB4_1352:                             ;   in Loop: Header=BB4_1317 Depth=1
	s_cmp_gt_u32 s21, 7
	s_cbranch_scc1 .LBB4_1357
; %bb.1353:                             ;   in Loop: Header=BB4_1317 Depth=1
	v_mov_b32_e32 v18, 0
	v_mov_b32_e32 v19, 0
	s_cmp_eq_u32 s21, 0
	s_cbranch_scc1 .LBB4_1356
; %bb.1354:                             ;   in Loop: Header=BB4_1317 Depth=1
	s_mov_b64 s[16:17], 0
	s_mov_b64 s[18:19], 0
.LBB4_1355:                             ;   Parent Loop BB4_1317 Depth=1
                                        ; =>  This Inner Loop Header: Depth=2
	s_add_u32 s22, s4, s18
	s_addc_u32 s23, s5, s19
	s_add_u32 s18, s18, 1
	global_load_ubyte v6, v7, s[22:23]
	s_addc_u32 s19, s19, 0
	s_waitcnt vmcnt(0)
	v_and_b32_e32 v6, 0xffff, v6
	v_lshlrev_b64 v[20:21], s16, v[6:7]
	s_add_u32 s16, s16, 8
	s_addc_u32 s17, s17, 0
	s_cmp_lg_u32 s21, s18
	v_or_b32_e32 v18, v20, v18
	v_or_b32_e32 v19, v21, v19
	s_cbranch_scc1 .LBB4_1355
.LBB4_1356:                             ;   in Loop: Header=BB4_1317 Depth=1
	s_mov_b32 s22, 0
	s_cbranch_execz .LBB4_1358
	s_branch .LBB4_1359
.LBB4_1357:                             ;   in Loop: Header=BB4_1317 Depth=1
                                        ; implicit-def: $vgpr18_vgpr19
                                        ; implicit-def: $sgpr22
.LBB4_1358:                             ;   in Loop: Header=BB4_1317 Depth=1
	global_load_dwordx2 v[18:19], v7, s[4:5]
	s_add_i32 s22, s21, -8
	s_add_u32 s4, s4, 8
	s_addc_u32 s5, s5, 0
.LBB4_1359:                             ;   in Loop: Header=BB4_1317 Depth=1
	s_cmp_gt_u32 s22, 7
	s_cbranch_scc1 .LBB4_1364
; %bb.1360:                             ;   in Loop: Header=BB4_1317 Depth=1
	v_mov_b32_e32 v20, 0
	v_mov_b32_e32 v21, 0
	s_cmp_eq_u32 s22, 0
	s_cbranch_scc1 .LBB4_1363
; %bb.1361:                             ;   in Loop: Header=BB4_1317 Depth=1
	s_mov_b64 s[16:17], 0
	s_mov_b64 s[18:19], s[4:5]
.LBB4_1362:                             ;   Parent Loop BB4_1317 Depth=1
                                        ; =>  This Inner Loop Header: Depth=2
	global_load_ubyte v6, v7, s[18:19]
	s_add_i32 s22, s22, -1
	s_waitcnt vmcnt(0)
	v_and_b32_e32 v6, 0xffff, v6
	v_lshlrev_b64 v[22:23], s16, v[6:7]
	s_add_u32 s16, s16, 8
	s_addc_u32 s17, s17, 0
	s_add_u32 s18, s18, 1
	s_addc_u32 s19, s19, 0
	s_cmp_lg_u32 s22, 0
	v_or_b32_e32 v20, v22, v20
	v_or_b32_e32 v21, v23, v21
	s_cbranch_scc1 .LBB4_1362
.LBB4_1363:                             ;   in Loop: Header=BB4_1317 Depth=1
	s_cbranch_execz .LBB4_1365
	s_branch .LBB4_1366
.LBB4_1364:                             ;   in Loop: Header=BB4_1317 Depth=1
.LBB4_1365:                             ;   in Loop: Header=BB4_1317 Depth=1
	global_load_dwordx2 v[20:21], v7, s[4:5]
.LBB4_1366:                             ;   in Loop: Header=BB4_1317 Depth=1
	v_readfirstlane_b32 s4, v37
	v_mov_b32_e32 v26, 0
	v_mov_b32_e32 v27, 0
	v_cmp_eq_u32_e64 s4, s4, v37
	s_and_saveexec_b32 s5, s4
	s_cbranch_execz .LBB4_1372
; %bb.1367:                             ;   in Loop: Header=BB4_1317 Depth=1
	global_load_dwordx2 v[24:25], v7, s[26:27] offset:24 glc dlc
	s_waitcnt vmcnt(0)
	buffer_gl1_inv
	buffer_gl0_inv
	s_clause 0x1
	global_load_dwordx2 v[22:23], v7, s[26:27] offset:40
	global_load_dwordx2 v[26:27], v7, s[26:27]
	s_mov_b32 s16, exec_lo
	s_waitcnt vmcnt(1)
	v_and_b32_e32 v6, v23, v25
	v_and_b32_e32 v22, v22, v24
	v_mul_lo_u32 v6, v6, 24
	v_mul_hi_u32 v23, v22, 24
	v_mul_lo_u32 v22, v22, 24
	v_add_nc_u32_e32 v6, v23, v6
	s_waitcnt vmcnt(0)
	v_add_co_u32 v22, vcc_lo, v26, v22
	v_add_co_ci_u32_e32 v23, vcc_lo, v27, v6, vcc_lo
	global_load_dwordx2 v[22:23], v[22:23], off glc dlc
	s_waitcnt vmcnt(0)
	global_atomic_cmpswap_x2 v[26:27], v7, v[22:25], s[26:27] offset:24 glc
	s_waitcnt vmcnt(0)
	buffer_gl1_inv
	buffer_gl0_inv
	v_cmpx_ne_u64_e64 v[26:27], v[24:25]
	s_cbranch_execz .LBB4_1371
; %bb.1368:                             ;   in Loop: Header=BB4_1317 Depth=1
	s_mov_b32 s17, 0
	.p2align	6
.LBB4_1369:                             ;   Parent Loop BB4_1317 Depth=1
                                        ; =>  This Inner Loop Header: Depth=2
	s_sleep 1
	s_clause 0x1
	global_load_dwordx2 v[22:23], v7, s[26:27] offset:40
	global_load_dwordx2 v[29:30], v7, s[26:27]
	v_mov_b32_e32 v24, v26
	v_mov_b32_e32 v25, v27
	s_waitcnt vmcnt(1)
	v_and_b32_e32 v6, v22, v24
	v_and_b32_e32 v22, v23, v25
	s_waitcnt vmcnt(0)
	v_mad_u64_u32 v[26:27], null, v6, 24, v[29:30]
	v_mov_b32_e32 v6, v27
	v_mad_u64_u32 v[22:23], null, v22, 24, v[6:7]
	v_mov_b32_e32 v27, v22
	global_load_dwordx2 v[22:23], v[26:27], off glc dlc
	s_waitcnt vmcnt(0)
	global_atomic_cmpswap_x2 v[26:27], v7, v[22:25], s[26:27] offset:24 glc
	s_waitcnt vmcnt(0)
	buffer_gl1_inv
	buffer_gl0_inv
	v_cmp_eq_u64_e32 vcc_lo, v[26:27], v[24:25]
	s_or_b32 s17, vcc_lo, s17
	s_andn2_b32 exec_lo, exec_lo, s17
	s_cbranch_execnz .LBB4_1369
; %bb.1370:                             ;   in Loop: Header=BB4_1317 Depth=1
	s_or_b32 exec_lo, exec_lo, s17
.LBB4_1371:                             ;   in Loop: Header=BB4_1317 Depth=1
	s_or_b32 exec_lo, exec_lo, s16
.LBB4_1372:                             ;   in Loop: Header=BB4_1317 Depth=1
	s_or_b32 exec_lo, exec_lo, s5
	s_clause 0x1
	global_load_dwordx2 v[29:30], v7, s[26:27] offset:40
	global_load_dwordx4 v[22:25], v7, s[26:27]
	v_readfirstlane_b32 s16, v26
	v_readfirstlane_b32 s17, v27
	s_mov_b32 s5, exec_lo
	s_waitcnt vmcnt(1)
	v_readfirstlane_b32 s18, v29
	v_readfirstlane_b32 s19, v30
	s_and_b64 s[18:19], s[16:17], s[18:19]
	s_mul_i32 s21, s19, 24
	s_mul_hi_u32 s22, s18, 24
	s_mul_i32 s23, s18, 24
	s_add_i32 s22, s22, s21
	s_waitcnt vmcnt(0)
	v_add_co_u32 v26, vcc_lo, v22, s23
	v_add_co_ci_u32_e32 v27, vcc_lo, s22, v23, vcc_lo
	s_and_saveexec_b32 s21, s4
	s_cbranch_execz .LBB4_1374
; %bb.1373:                             ;   in Loop: Header=BB4_1317 Depth=1
	v_mov_b32_e32 v6, s5
	global_store_dwordx4 v[26:27], v[6:9], off offset:8
.LBB4_1374:                             ;   in Loop: Header=BB4_1317 Depth=1
	s_or_b32 exec_lo, exec_lo, s21
	s_lshl_b64 s[18:19], s[18:19], 12
	v_cmp_gt_u64_e64 vcc_lo, s[12:13], 56
	v_or_b32_e32 v29, v0, v28
	v_add_co_u32 v24, s5, v24, s18
	v_add_co_ci_u32_e64 v25, s5, s19, v25, s5
	s_lshl_b32 s5, s14, 2
	v_or_b32_e32 v6, 0, v1
	v_cndmask_b32_e32 v0, v29, v0, vcc_lo
	s_add_i32 s5, s5, 28
	v_readfirstlane_b32 s18, v24
	s_and_b32 s5, s5, 0x1e0
	v_cndmask_b32_e32 v1, v6, v1, vcc_lo
	v_readfirstlane_b32 s19, v25
	v_and_or_b32 v0, 0xffffff1f, v0, s5
	global_store_dwordx4 v36, v[0:3], s[18:19]
	global_store_dwordx4 v36, v[10:13], s[18:19] offset:16
	global_store_dwordx4 v36, v[14:17], s[18:19] offset:32
	;; [unrolled: 1-line block ×3, first 2 shown]
	s_and_saveexec_b32 s5, s4
	s_cbranch_execz .LBB4_1382
; %bb.1375:                             ;   in Loop: Header=BB4_1317 Depth=1
	s_clause 0x1
	global_load_dwordx2 v[14:15], v7, s[26:27] offset:32 glc dlc
	global_load_dwordx2 v[0:1], v7, s[26:27] offset:40
	v_mov_b32_e32 v12, s16
	v_mov_b32_e32 v13, s17
	s_waitcnt vmcnt(0)
	v_readfirstlane_b32 s18, v0
	v_readfirstlane_b32 s19, v1
	s_and_b64 s[18:19], s[18:19], s[16:17]
	s_mul_i32 s19, s19, 24
	s_mul_hi_u32 s21, s18, 24
	s_mul_i32 s18, s18, 24
	s_add_i32 s21, s21, s19
	v_add_co_u32 v10, vcc_lo, v22, s18
	v_add_co_ci_u32_e32 v11, vcc_lo, s21, v23, vcc_lo
	s_mov_b32 s18, exec_lo
	global_store_dwordx2 v[10:11], v[14:15], off
	s_waitcnt_vscnt null, 0x0
	global_atomic_cmpswap_x2 v[2:3], v7, v[12:15], s[26:27] offset:32 glc
	s_waitcnt vmcnt(0)
	v_cmpx_ne_u64_e64 v[2:3], v[14:15]
	s_cbranch_execz .LBB4_1378
; %bb.1376:                             ;   in Loop: Header=BB4_1317 Depth=1
	s_mov_b32 s19, 0
.LBB4_1377:                             ;   Parent Loop BB4_1317 Depth=1
                                        ; =>  This Inner Loop Header: Depth=2
	v_mov_b32_e32 v0, s16
	v_mov_b32_e32 v1, s17
	s_sleep 1
	global_store_dwordx2 v[10:11], v[2:3], off
	s_waitcnt_vscnt null, 0x0
	global_atomic_cmpswap_x2 v[0:1], v7, v[0:3], s[26:27] offset:32 glc
	s_waitcnt vmcnt(0)
	v_cmp_eq_u64_e32 vcc_lo, v[0:1], v[2:3]
	v_mov_b32_e32 v3, v1
	v_mov_b32_e32 v2, v0
	s_or_b32 s19, vcc_lo, s19
	s_andn2_b32 exec_lo, exec_lo, s19
	s_cbranch_execnz .LBB4_1377
.LBB4_1378:                             ;   in Loop: Header=BB4_1317 Depth=1
	s_or_b32 exec_lo, exec_lo, s18
	global_load_dwordx2 v[0:1], v7, s[26:27] offset:16
	s_mov_b32 s19, exec_lo
	s_mov_b32 s18, exec_lo
	v_mbcnt_lo_u32_b32 v2, s19, 0
	v_cmpx_eq_u32_e32 0, v2
	s_cbranch_execz .LBB4_1380
; %bb.1379:                             ;   in Loop: Header=BB4_1317 Depth=1
	s_bcnt1_i32_b32 s19, s19
	v_mov_b32_e32 v6, s19
	s_waitcnt vmcnt(0)
	global_atomic_add_x2 v[0:1], v[6:7], off offset:8
.LBB4_1380:                             ;   in Loop: Header=BB4_1317 Depth=1
	s_or_b32 exec_lo, exec_lo, s18
	s_waitcnt vmcnt(0)
	global_load_dwordx2 v[2:3], v[0:1], off offset:16
	s_waitcnt vmcnt(0)
	v_cmp_eq_u64_e32 vcc_lo, 0, v[2:3]
	s_cbranch_vccnz .LBB4_1382
; %bb.1381:                             ;   in Loop: Header=BB4_1317 Depth=1
	global_load_dword v6, v[0:1], off offset:24
	s_waitcnt vmcnt(0)
	v_and_b32_e32 v0, 0x7fffff, v6
	s_waitcnt_vscnt null, 0x0
	global_store_dwordx2 v[2:3], v[6:7], off
	v_readfirstlane_b32 m0, v0
	s_sendmsg sendmsg(MSG_INTERRUPT)
.LBB4_1382:                             ;   in Loop: Header=BB4_1317 Depth=1
	s_or_b32 exec_lo, exec_lo, s5
	v_add_co_u32 v0, vcc_lo, v24, v36
	v_add_co_ci_u32_e32 v1, vcc_lo, 0, v25, vcc_lo
	s_branch .LBB4_1386
	.p2align	6
.LBB4_1383:                             ;   in Loop: Header=BB4_1386 Depth=2
	s_or_b32 exec_lo, exec_lo, s5
	v_readfirstlane_b32 s5, v2
	s_cmp_eq_u32 s5, 0
	s_cbranch_scc1 .LBB4_1385
; %bb.1384:                             ;   in Loop: Header=BB4_1386 Depth=2
	s_sleep 1
	s_cbranch_execnz .LBB4_1386
	s_branch .LBB4_1388
	.p2align	6
.LBB4_1385:                             ;   in Loop: Header=BB4_1317 Depth=1
	s_branch .LBB4_1388
.LBB4_1386:                             ;   Parent Loop BB4_1317 Depth=1
                                        ; =>  This Inner Loop Header: Depth=2
	v_mov_b32_e32 v2, 1
	s_and_saveexec_b32 s5, s4
	s_cbranch_execz .LBB4_1383
; %bb.1387:                             ;   in Loop: Header=BB4_1386 Depth=2
	global_load_dword v2, v[26:27], off offset:20 glc dlc
	s_waitcnt vmcnt(0)
	buffer_gl1_inv
	buffer_gl0_inv
	v_and_b32_e32 v2, 1, v2
	s_branch .LBB4_1383
.LBB4_1388:                             ;   in Loop: Header=BB4_1317 Depth=1
	global_load_dwordx4 v[0:3], v[0:1], off
	s_and_saveexec_b32 s5, s4
	s_cbranch_execz .LBB4_1316
; %bb.1389:                             ;   in Loop: Header=BB4_1317 Depth=1
	s_clause 0x2
	global_load_dwordx2 v[2:3], v7, s[26:27] offset:40
	global_load_dwordx2 v[14:15], v7, s[26:27] offset:24 glc dlc
	global_load_dwordx2 v[12:13], v7, s[26:27]
	s_waitcnt vmcnt(2)
	v_add_co_u32 v6, vcc_lo, v2, 1
	v_add_co_ci_u32_e32 v16, vcc_lo, 0, v3, vcc_lo
	v_add_co_u32 v10, vcc_lo, v6, s16
	v_add_co_ci_u32_e32 v11, vcc_lo, s17, v16, vcc_lo
	v_cmp_eq_u64_e32 vcc_lo, 0, v[10:11]
	v_cndmask_b32_e32 v11, v11, v16, vcc_lo
	v_cndmask_b32_e32 v10, v10, v6, vcc_lo
	v_and_b32_e32 v3, v11, v3
	v_and_b32_e32 v2, v10, v2
	v_mul_lo_u32 v3, v3, 24
	v_mul_hi_u32 v6, v2, 24
	v_mul_lo_u32 v2, v2, 24
	v_add_nc_u32_e32 v3, v6, v3
	s_waitcnt vmcnt(0)
	v_add_co_u32 v2, vcc_lo, v12, v2
	v_mov_b32_e32 v12, v14
	v_add_co_ci_u32_e32 v3, vcc_lo, v13, v3, vcc_lo
	v_mov_b32_e32 v13, v15
	global_store_dwordx2 v[2:3], v[14:15], off
	s_waitcnt_vscnt null, 0x0
	global_atomic_cmpswap_x2 v[12:13], v7, v[10:13], s[26:27] offset:24 glc
	s_waitcnt vmcnt(0)
	v_cmp_ne_u64_e32 vcc_lo, v[12:13], v[14:15]
	s_and_b32 exec_lo, exec_lo, vcc_lo
	s_cbranch_execz .LBB4_1316
; %bb.1390:                             ;   in Loop: Header=BB4_1317 Depth=1
	s_mov_b32 s4, 0
.LBB4_1391:                             ;   Parent Loop BB4_1317 Depth=1
                                        ; =>  This Inner Loop Header: Depth=2
	s_sleep 1
	global_store_dwordx2 v[2:3], v[12:13], off
	s_waitcnt_vscnt null, 0x0
	global_atomic_cmpswap_x2 v[14:15], v7, v[10:13], s[26:27] offset:24 glc
	s_waitcnt vmcnt(0)
	v_cmp_eq_u64_e32 vcc_lo, v[14:15], v[12:13]
	v_mov_b32_e32 v12, v14
	v_mov_b32_e32 v13, v15
	s_or_b32 s4, vcc_lo, s4
	s_andn2_b32 exec_lo, exec_lo, s4
	s_cbranch_execnz .LBB4_1391
	s_branch .LBB4_1316
.LBB4_1392:
	s_branch .LBB4_1421
.LBB4_1393:
                                        ; implicit-def: $vgpr0_vgpr1
	s_cbranch_execz .LBB4_1421
; %bb.1394:
	v_readfirstlane_b32 s4, v37
	v_mov_b32_e32 v7, 0
	v_mov_b32_e32 v8, 0
	v_cmp_eq_u32_e64 s4, s4, v37
	s_and_saveexec_b32 s5, s4
	s_cbranch_execz .LBB4_1400
; %bb.1395:
	s_waitcnt vmcnt(0)
	v_mov_b32_e32 v0, 0
	s_mov_b32 s8, exec_lo
	global_load_dwordx2 v[9:10], v0, s[26:27] offset:24 glc dlc
	s_waitcnt vmcnt(0)
	buffer_gl1_inv
	buffer_gl0_inv
	s_clause 0x1
	global_load_dwordx2 v[1:2], v0, s[26:27] offset:40
	global_load_dwordx2 v[6:7], v0, s[26:27]
	s_waitcnt vmcnt(1)
	v_and_b32_e32 v2, v2, v10
	v_and_b32_e32 v1, v1, v9
	v_mul_lo_u32 v2, v2, 24
	v_mul_hi_u32 v3, v1, 24
	v_mul_lo_u32 v1, v1, 24
	v_add_nc_u32_e32 v2, v3, v2
	s_waitcnt vmcnt(0)
	v_add_co_u32 v1, vcc_lo, v6, v1
	v_add_co_ci_u32_e32 v2, vcc_lo, v7, v2, vcc_lo
	global_load_dwordx2 v[7:8], v[1:2], off glc dlc
	s_waitcnt vmcnt(0)
	global_atomic_cmpswap_x2 v[7:8], v0, v[7:10], s[26:27] offset:24 glc
	s_waitcnt vmcnt(0)
	buffer_gl1_inv
	buffer_gl0_inv
	v_cmpx_ne_u64_e64 v[7:8], v[9:10]
	s_cbranch_execz .LBB4_1399
; %bb.1396:
	s_mov_b32 s9, 0
.LBB4_1397:                             ; =>This Inner Loop Header: Depth=1
	s_sleep 1
	s_clause 0x1
	global_load_dwordx2 v[1:2], v0, s[26:27] offset:40
	global_load_dwordx2 v[11:12], v0, s[26:27]
	v_mov_b32_e32 v10, v8
	v_mov_b32_e32 v9, v7
	s_waitcnt vmcnt(1)
	v_and_b32_e32 v1, v1, v9
	v_and_b32_e32 v2, v2, v10
	s_waitcnt vmcnt(0)
	v_mad_u64_u32 v[6:7], null, v1, 24, v[11:12]
	v_mov_b32_e32 v1, v7
	v_mad_u64_u32 v[1:2], null, v2, 24, v[1:2]
	v_mov_b32_e32 v7, v1
	global_load_dwordx2 v[7:8], v[6:7], off glc dlc
	s_waitcnt vmcnt(0)
	global_atomic_cmpswap_x2 v[7:8], v0, v[7:10], s[26:27] offset:24 glc
	s_waitcnt vmcnt(0)
	buffer_gl1_inv
	buffer_gl0_inv
	v_cmp_eq_u64_e32 vcc_lo, v[7:8], v[9:10]
	s_or_b32 s9, vcc_lo, s9
	s_andn2_b32 exec_lo, exec_lo, s9
	s_cbranch_execnz .LBB4_1397
; %bb.1398:
	s_or_b32 exec_lo, exec_lo, s9
.LBB4_1399:
	s_or_b32 exec_lo, exec_lo, s8
.LBB4_1400:
	s_or_b32 exec_lo, exec_lo, s5
	v_mov_b32_e32 v6, 0
	v_readfirstlane_b32 s8, v7
	v_readfirstlane_b32 s9, v8
	s_mov_b32 s5, exec_lo
	s_clause 0x1
	global_load_dwordx2 v[9:10], v6, s[26:27] offset:40
	global_load_dwordx4 v[0:3], v6, s[26:27]
	s_waitcnt vmcnt(1)
	v_readfirstlane_b32 s12, v9
	v_readfirstlane_b32 s13, v10
	s_and_b64 s[12:13], s[8:9], s[12:13]
	s_mul_i32 s14, s13, 24
	s_mul_hi_u32 s15, s12, 24
	s_mul_i32 s16, s12, 24
	s_add_i32 s15, s15, s14
	s_waitcnt vmcnt(0)
	v_add_co_u32 v8, vcc_lo, v0, s16
	v_add_co_ci_u32_e32 v9, vcc_lo, s15, v1, vcc_lo
	s_and_saveexec_b32 s14, s4
	s_cbranch_execz .LBB4_1402
; %bb.1401:
	v_mov_b32_e32 v10, s5
	v_mov_b32_e32 v11, v6
	;; [unrolled: 1-line block ×4, first 2 shown]
	global_store_dwordx4 v[8:9], v[10:13], off offset:8
.LBB4_1402:
	s_or_b32 exec_lo, exec_lo, s14
	s_lshl_b64 s[12:13], s[12:13], 12
	v_and_or_b32 v4, 0xffffff1f, v4, 32
	v_add_co_u32 v2, vcc_lo, v2, s12
	v_add_co_ci_u32_e32 v3, vcc_lo, s13, v3, vcc_lo
	s_mov_b32 s12, 0
	v_add_co_u32 v10, vcc_lo, v2, v36
	s_mov_b32 s13, s12
	s_mov_b32 s14, s12
	;; [unrolled: 1-line block ×3, first 2 shown]
	v_mov_b32_e32 v7, v6
	v_readfirstlane_b32 s16, v2
	v_readfirstlane_b32 s17, v3
	v_mov_b32_e32 v12, s12
	v_add_co_ci_u32_e32 v11, vcc_lo, 0, v3, vcc_lo
	v_mov_b32_e32 v13, s13
	v_mov_b32_e32 v14, s14
	v_mov_b32_e32 v15, s15
	global_store_dwordx4 v36, v[4:7], s[16:17]
	global_store_dwordx4 v36, v[12:15], s[16:17] offset:16
	global_store_dwordx4 v36, v[12:15], s[16:17] offset:32
	;; [unrolled: 1-line block ×3, first 2 shown]
	s_and_saveexec_b32 s5, s4
	s_cbranch_execz .LBB4_1410
; %bb.1403:
	v_mov_b32_e32 v6, 0
	v_mov_b32_e32 v12, s8
	;; [unrolled: 1-line block ×3, first 2 shown]
	s_clause 0x1
	global_load_dwordx2 v[14:15], v6, s[26:27] offset:32 glc dlc
	global_load_dwordx2 v[2:3], v6, s[26:27] offset:40
	s_waitcnt vmcnt(0)
	v_readfirstlane_b32 s12, v2
	v_readfirstlane_b32 s13, v3
	s_and_b64 s[12:13], s[12:13], s[8:9]
	s_mul_i32 s13, s13, 24
	s_mul_hi_u32 s14, s12, 24
	s_mul_i32 s12, s12, 24
	s_add_i32 s14, s14, s13
	v_add_co_u32 v4, vcc_lo, v0, s12
	v_add_co_ci_u32_e32 v5, vcc_lo, s14, v1, vcc_lo
	s_mov_b32 s12, exec_lo
	global_store_dwordx2 v[4:5], v[14:15], off
	s_waitcnt_vscnt null, 0x0
	global_atomic_cmpswap_x2 v[2:3], v6, v[12:15], s[26:27] offset:32 glc
	s_waitcnt vmcnt(0)
	v_cmpx_ne_u64_e64 v[2:3], v[14:15]
	s_cbranch_execz .LBB4_1406
; %bb.1404:
	s_mov_b32 s13, 0
.LBB4_1405:                             ; =>This Inner Loop Header: Depth=1
	v_mov_b32_e32 v0, s8
	v_mov_b32_e32 v1, s9
	s_sleep 1
	global_store_dwordx2 v[4:5], v[2:3], off
	s_waitcnt_vscnt null, 0x0
	global_atomic_cmpswap_x2 v[0:1], v6, v[0:3], s[26:27] offset:32 glc
	s_waitcnt vmcnt(0)
	v_cmp_eq_u64_e32 vcc_lo, v[0:1], v[2:3]
	v_mov_b32_e32 v3, v1
	v_mov_b32_e32 v2, v0
	s_or_b32 s13, vcc_lo, s13
	s_andn2_b32 exec_lo, exec_lo, s13
	s_cbranch_execnz .LBB4_1405
.LBB4_1406:
	s_or_b32 exec_lo, exec_lo, s12
	v_mov_b32_e32 v3, 0
	s_mov_b32 s13, exec_lo
	s_mov_b32 s12, exec_lo
	v_mbcnt_lo_u32_b32 v2, s13, 0
	global_load_dwordx2 v[0:1], v3, s[26:27] offset:16
	v_cmpx_eq_u32_e32 0, v2
	s_cbranch_execz .LBB4_1408
; %bb.1407:
	s_bcnt1_i32_b32 s13, s13
	v_mov_b32_e32 v2, s13
	s_waitcnt vmcnt(0)
	global_atomic_add_x2 v[0:1], v[2:3], off offset:8
.LBB4_1408:
	s_or_b32 exec_lo, exec_lo, s12
	s_waitcnt vmcnt(0)
	global_load_dwordx2 v[2:3], v[0:1], off offset:16
	s_waitcnt vmcnt(0)
	v_cmp_eq_u64_e32 vcc_lo, 0, v[2:3]
	s_cbranch_vccnz .LBB4_1410
; %bb.1409:
	global_load_dword v0, v[0:1], off offset:24
	v_mov_b32_e32 v1, 0
	s_waitcnt vmcnt(0)
	v_and_b32_e32 v4, 0x7fffff, v0
	s_waitcnt_vscnt null, 0x0
	global_store_dwordx2 v[2:3], v[0:1], off
	v_readfirstlane_b32 m0, v4
	s_sendmsg sendmsg(MSG_INTERRUPT)
.LBB4_1410:
	s_or_b32 exec_lo, exec_lo, s5
	s_branch .LBB4_1414
	.p2align	6
.LBB4_1411:                             ;   in Loop: Header=BB4_1414 Depth=1
	s_or_b32 exec_lo, exec_lo, s5
	v_readfirstlane_b32 s5, v0
	s_cmp_eq_u32 s5, 0
	s_cbranch_scc1 .LBB4_1413
; %bb.1412:                             ;   in Loop: Header=BB4_1414 Depth=1
	s_sleep 1
	s_cbranch_execnz .LBB4_1414
	s_branch .LBB4_1416
	.p2align	6
.LBB4_1413:
	s_branch .LBB4_1416
.LBB4_1414:                             ; =>This Inner Loop Header: Depth=1
	v_mov_b32_e32 v0, 1
	s_and_saveexec_b32 s5, s4
	s_cbranch_execz .LBB4_1411
; %bb.1415:                             ;   in Loop: Header=BB4_1414 Depth=1
	global_load_dword v0, v[8:9], off offset:20 glc dlc
	s_waitcnt vmcnt(0)
	buffer_gl1_inv
	buffer_gl0_inv
	v_and_b32_e32 v0, 1, v0
	s_branch .LBB4_1411
.LBB4_1416:
	global_load_dwordx2 v[0:1], v[10:11], off
	s_and_saveexec_b32 s5, s4
	s_cbranch_execz .LBB4_1420
; %bb.1417:
	v_mov_b32_e32 v8, 0
	s_clause 0x2
	global_load_dwordx2 v[4:5], v8, s[26:27] offset:40
	global_load_dwordx2 v[9:10], v8, s[26:27] offset:24 glc dlc
	global_load_dwordx2 v[6:7], v8, s[26:27]
	s_waitcnt vmcnt(2)
	v_add_co_u32 v11, vcc_lo, v4, 1
	v_add_co_ci_u32_e32 v12, vcc_lo, 0, v5, vcc_lo
	v_add_co_u32 v2, vcc_lo, v11, s8
	v_add_co_ci_u32_e32 v3, vcc_lo, s9, v12, vcc_lo
	v_cmp_eq_u64_e32 vcc_lo, 0, v[2:3]
	v_cndmask_b32_e32 v3, v3, v12, vcc_lo
	v_cndmask_b32_e32 v2, v2, v11, vcc_lo
	v_and_b32_e32 v5, v3, v5
	v_and_b32_e32 v4, v2, v4
	v_mul_lo_u32 v5, v5, 24
	v_mul_hi_u32 v11, v4, 24
	v_mul_lo_u32 v4, v4, 24
	v_add_nc_u32_e32 v5, v11, v5
	s_waitcnt vmcnt(0)
	v_add_co_u32 v6, vcc_lo, v6, v4
	v_mov_b32_e32 v4, v9
	v_add_co_ci_u32_e32 v7, vcc_lo, v7, v5, vcc_lo
	v_mov_b32_e32 v5, v10
	global_store_dwordx2 v[6:7], v[9:10], off
	s_waitcnt_vscnt null, 0x0
	global_atomic_cmpswap_x2 v[4:5], v8, v[2:5], s[26:27] offset:24 glc
	s_waitcnt vmcnt(0)
	v_cmp_ne_u64_e32 vcc_lo, v[4:5], v[9:10]
	s_and_b32 exec_lo, exec_lo, vcc_lo
	s_cbranch_execz .LBB4_1420
; %bb.1418:
	s_mov_b32 s4, 0
.LBB4_1419:                             ; =>This Inner Loop Header: Depth=1
	s_sleep 1
	global_store_dwordx2 v[6:7], v[4:5], off
	s_waitcnt_vscnt null, 0x0
	global_atomic_cmpswap_x2 v[9:10], v8, v[2:5], s[26:27] offset:24 glc
	s_waitcnt vmcnt(0)
	v_cmp_eq_u64_e32 vcc_lo, v[9:10], v[4:5]
	v_mov_b32_e32 v4, v9
	v_mov_b32_e32 v5, v10
	s_or_b32 s4, vcc_lo, s4
	s_andn2_b32 exec_lo, exec_lo, s4
	s_cbranch_execnz .LBB4_1419
.LBB4_1420:
	s_or_b32 exec_lo, exec_lo, s5
.LBB4_1421:
	s_getpc_b64 s[8:9]
	s_add_u32 s8, s8, .str.2@rel32@lo+4
	s_addc_u32 s9, s9, .str.2@rel32@hi+12
	s_cmp_lg_u64 s[8:9], 0
	s_cbranch_scc0 .LBB4_1500
; %bb.1422:
	s_waitcnt vmcnt(0)
	v_and_b32_e32 v6, -3, v0
	v_mov_b32_e32 v7, v1
	v_mov_b32_e32 v3, 0
	;; [unrolled: 1-line block ×4, first 2 shown]
	s_mov_b64 s[12:13], 13
	s_branch .LBB4_1424
.LBB4_1423:                             ;   in Loop: Header=BB4_1424 Depth=1
	s_or_b32 exec_lo, exec_lo, s5
	s_sub_u32 s12, s12, s14
	s_subb_u32 s13, s13, s15
	s_add_u32 s8, s8, s14
	s_addc_u32 s9, s9, s15
	s_cmp_lg_u64 s[12:13], 0
	s_cbranch_scc0 .LBB4_1499
.LBB4_1424:                             ; =>This Loop Header: Depth=1
                                        ;     Child Loop BB4_1433 Depth 2
                                        ;     Child Loop BB4_1429 Depth 2
	;; [unrolled: 1-line block ×11, first 2 shown]
	v_cmp_lt_u64_e64 s4, s[12:13], 56
	v_cmp_gt_u64_e64 s5, s[12:13], 7
                                        ; implicit-def: $sgpr21
	s_and_b32 s4, s4, exec_lo
	s_cselect_b32 s15, s13, 0
	s_cselect_b32 s14, s12, 56
	s_and_b32 vcc_lo, exec_lo, s5
	s_mov_b32 s4, -1
	s_cbranch_vccz .LBB4_1431
; %bb.1425:                             ;   in Loop: Header=BB4_1424 Depth=1
	s_andn2_b32 vcc_lo, exec_lo, s4
	s_mov_b64 s[4:5], s[8:9]
	s_cbranch_vccz .LBB4_1435
.LBB4_1426:                             ;   in Loop: Header=BB4_1424 Depth=1
	s_cmp_gt_u32 s21, 7
	s_cbranch_scc1 .LBB4_1436
.LBB4_1427:                             ;   in Loop: Header=BB4_1424 Depth=1
	v_mov_b32_e32 v10, 0
	v_mov_b32_e32 v11, 0
	s_cmp_eq_u32 s21, 0
	s_cbranch_scc1 .LBB4_1430
; %bb.1428:                             ;   in Loop: Header=BB4_1424 Depth=1
	s_mov_b64 s[16:17], 0
	s_mov_b64 s[18:19], 0
.LBB4_1429:                             ;   Parent Loop BB4_1424 Depth=1
                                        ; =>  This Inner Loop Header: Depth=2
	s_add_u32 s22, s4, s18
	s_addc_u32 s23, s5, s19
	s_add_u32 s18, s18, 1
	global_load_ubyte v2, v3, s[22:23]
	s_addc_u32 s19, s19, 0
	s_waitcnt vmcnt(0)
	v_and_b32_e32 v2, 0xffff, v2
	v_lshlrev_b64 v[12:13], s16, v[2:3]
	s_add_u32 s16, s16, 8
	s_addc_u32 s17, s17, 0
	s_cmp_lg_u32 s21, s18
	v_or_b32_e32 v10, v12, v10
	v_or_b32_e32 v11, v13, v11
	s_cbranch_scc1 .LBB4_1429
.LBB4_1430:                             ;   in Loop: Header=BB4_1424 Depth=1
	s_mov_b32 s22, 0
	s_cbranch_execz .LBB4_1437
	s_branch .LBB4_1438
.LBB4_1431:                             ;   in Loop: Header=BB4_1424 Depth=1
	s_waitcnt vmcnt(0)
	v_mov_b32_e32 v8, 0
	v_mov_b32_e32 v9, 0
	s_cmp_eq_u64 s[12:13], 0
	s_mov_b64 s[4:5], 0
	s_cbranch_scc1 .LBB4_1434
; %bb.1432:                             ;   in Loop: Header=BB4_1424 Depth=1
	v_mov_b32_e32 v8, 0
	v_mov_b32_e32 v9, 0
	s_lshl_b64 s[16:17], s[14:15], 3
	s_mov_b64 s[18:19], s[8:9]
.LBB4_1433:                             ;   Parent Loop BB4_1424 Depth=1
                                        ; =>  This Inner Loop Header: Depth=2
	global_load_ubyte v2, v3, s[18:19]
	s_waitcnt vmcnt(0)
	v_and_b32_e32 v2, 0xffff, v2
	v_lshlrev_b64 v[10:11], s4, v[2:3]
	s_add_u32 s4, s4, 8
	s_addc_u32 s5, s5, 0
	s_add_u32 s18, s18, 1
	s_addc_u32 s19, s19, 0
	s_cmp_lg_u32 s16, s4
	v_or_b32_e32 v8, v10, v8
	v_or_b32_e32 v9, v11, v9
	s_cbranch_scc1 .LBB4_1433
.LBB4_1434:                             ;   in Loop: Header=BB4_1424 Depth=1
	s_mov_b32 s21, 0
	s_mov_b64 s[4:5], s[8:9]
	s_cbranch_execnz .LBB4_1426
.LBB4_1435:                             ;   in Loop: Header=BB4_1424 Depth=1
	global_load_dwordx2 v[8:9], v3, s[8:9]
	s_add_i32 s21, s14, -8
	s_add_u32 s4, s8, 8
	s_addc_u32 s5, s9, 0
	s_cmp_gt_u32 s21, 7
	s_cbranch_scc0 .LBB4_1427
.LBB4_1436:                             ;   in Loop: Header=BB4_1424 Depth=1
                                        ; implicit-def: $vgpr10_vgpr11
                                        ; implicit-def: $sgpr22
.LBB4_1437:                             ;   in Loop: Header=BB4_1424 Depth=1
	global_load_dwordx2 v[10:11], v3, s[4:5]
	s_add_i32 s22, s21, -8
	s_add_u32 s4, s4, 8
	s_addc_u32 s5, s5, 0
.LBB4_1438:                             ;   in Loop: Header=BB4_1424 Depth=1
	s_cmp_gt_u32 s22, 7
	s_cbranch_scc1 .LBB4_1443
; %bb.1439:                             ;   in Loop: Header=BB4_1424 Depth=1
	v_mov_b32_e32 v12, 0
	v_mov_b32_e32 v13, 0
	s_cmp_eq_u32 s22, 0
	s_cbranch_scc1 .LBB4_1442
; %bb.1440:                             ;   in Loop: Header=BB4_1424 Depth=1
	s_mov_b64 s[16:17], 0
	s_mov_b64 s[18:19], 0
.LBB4_1441:                             ;   Parent Loop BB4_1424 Depth=1
                                        ; =>  This Inner Loop Header: Depth=2
	s_add_u32 s24, s4, s18
	s_addc_u32 s25, s5, s19
	s_add_u32 s18, s18, 1
	global_load_ubyte v2, v3, s[24:25]
	s_addc_u32 s19, s19, 0
	s_waitcnt vmcnt(0)
	v_and_b32_e32 v2, 0xffff, v2
	v_lshlrev_b64 v[14:15], s16, v[2:3]
	s_add_u32 s16, s16, 8
	s_addc_u32 s17, s17, 0
	s_cmp_lg_u32 s22, s18
	v_or_b32_e32 v12, v14, v12
	v_or_b32_e32 v13, v15, v13
	s_cbranch_scc1 .LBB4_1441
.LBB4_1442:                             ;   in Loop: Header=BB4_1424 Depth=1
	s_mov_b32 s21, 0
	s_cbranch_execz .LBB4_1444
	s_branch .LBB4_1445
.LBB4_1443:                             ;   in Loop: Header=BB4_1424 Depth=1
                                        ; implicit-def: $sgpr21
.LBB4_1444:                             ;   in Loop: Header=BB4_1424 Depth=1
	global_load_dwordx2 v[12:13], v3, s[4:5]
	s_add_i32 s21, s22, -8
	s_add_u32 s4, s4, 8
	s_addc_u32 s5, s5, 0
.LBB4_1445:                             ;   in Loop: Header=BB4_1424 Depth=1
	s_cmp_gt_u32 s21, 7
	s_cbranch_scc1 .LBB4_1450
; %bb.1446:                             ;   in Loop: Header=BB4_1424 Depth=1
	v_mov_b32_e32 v14, 0
	v_mov_b32_e32 v15, 0
	s_cmp_eq_u32 s21, 0
	s_cbranch_scc1 .LBB4_1449
; %bb.1447:                             ;   in Loop: Header=BB4_1424 Depth=1
	s_mov_b64 s[16:17], 0
	s_mov_b64 s[18:19], 0
.LBB4_1448:                             ;   Parent Loop BB4_1424 Depth=1
                                        ; =>  This Inner Loop Header: Depth=2
	s_add_u32 s22, s4, s18
	s_addc_u32 s23, s5, s19
	s_add_u32 s18, s18, 1
	global_load_ubyte v2, v3, s[22:23]
	s_addc_u32 s19, s19, 0
	s_waitcnt vmcnt(0)
	v_and_b32_e32 v2, 0xffff, v2
	v_lshlrev_b64 v[16:17], s16, v[2:3]
	s_add_u32 s16, s16, 8
	s_addc_u32 s17, s17, 0
	s_cmp_lg_u32 s21, s18
	v_or_b32_e32 v14, v16, v14
	v_or_b32_e32 v15, v17, v15
	s_cbranch_scc1 .LBB4_1448
.LBB4_1449:                             ;   in Loop: Header=BB4_1424 Depth=1
	s_mov_b32 s22, 0
	s_cbranch_execz .LBB4_1451
	s_branch .LBB4_1452
.LBB4_1450:                             ;   in Loop: Header=BB4_1424 Depth=1
                                        ; implicit-def: $vgpr14_vgpr15
                                        ; implicit-def: $sgpr22
.LBB4_1451:                             ;   in Loop: Header=BB4_1424 Depth=1
	global_load_dwordx2 v[14:15], v3, s[4:5]
	s_add_i32 s22, s21, -8
	s_add_u32 s4, s4, 8
	s_addc_u32 s5, s5, 0
.LBB4_1452:                             ;   in Loop: Header=BB4_1424 Depth=1
	s_cmp_gt_u32 s22, 7
	s_cbranch_scc1 .LBB4_1457
; %bb.1453:                             ;   in Loop: Header=BB4_1424 Depth=1
	v_mov_b32_e32 v16, 0
	v_mov_b32_e32 v17, 0
	s_cmp_eq_u32 s22, 0
	s_cbranch_scc1 .LBB4_1456
; %bb.1454:                             ;   in Loop: Header=BB4_1424 Depth=1
	s_mov_b64 s[16:17], 0
	s_mov_b64 s[18:19], 0
.LBB4_1455:                             ;   Parent Loop BB4_1424 Depth=1
                                        ; =>  This Inner Loop Header: Depth=2
	s_add_u32 s24, s4, s18
	s_addc_u32 s25, s5, s19
	s_add_u32 s18, s18, 1
	global_load_ubyte v2, v3, s[24:25]
	s_addc_u32 s19, s19, 0
	s_waitcnt vmcnt(0)
	v_and_b32_e32 v2, 0xffff, v2
	v_lshlrev_b64 v[18:19], s16, v[2:3]
	s_add_u32 s16, s16, 8
	s_addc_u32 s17, s17, 0
	s_cmp_lg_u32 s22, s18
	v_or_b32_e32 v16, v18, v16
	v_or_b32_e32 v17, v19, v17
	s_cbranch_scc1 .LBB4_1455
.LBB4_1456:                             ;   in Loop: Header=BB4_1424 Depth=1
	s_mov_b32 s21, 0
	s_cbranch_execz .LBB4_1458
	s_branch .LBB4_1459
.LBB4_1457:                             ;   in Loop: Header=BB4_1424 Depth=1
                                        ; implicit-def: $sgpr21
.LBB4_1458:                             ;   in Loop: Header=BB4_1424 Depth=1
	global_load_dwordx2 v[16:17], v3, s[4:5]
	s_add_i32 s21, s22, -8
	s_add_u32 s4, s4, 8
	s_addc_u32 s5, s5, 0
.LBB4_1459:                             ;   in Loop: Header=BB4_1424 Depth=1
	s_cmp_gt_u32 s21, 7
	s_cbranch_scc1 .LBB4_1464
; %bb.1460:                             ;   in Loop: Header=BB4_1424 Depth=1
	v_mov_b32_e32 v18, 0
	v_mov_b32_e32 v19, 0
	s_cmp_eq_u32 s21, 0
	s_cbranch_scc1 .LBB4_1463
; %bb.1461:                             ;   in Loop: Header=BB4_1424 Depth=1
	s_mov_b64 s[16:17], 0
	s_mov_b64 s[18:19], 0
.LBB4_1462:                             ;   Parent Loop BB4_1424 Depth=1
                                        ; =>  This Inner Loop Header: Depth=2
	s_add_u32 s22, s4, s18
	s_addc_u32 s23, s5, s19
	s_add_u32 s18, s18, 1
	global_load_ubyte v2, v3, s[22:23]
	s_addc_u32 s19, s19, 0
	s_waitcnt vmcnt(0)
	v_and_b32_e32 v2, 0xffff, v2
	v_lshlrev_b64 v[20:21], s16, v[2:3]
	s_add_u32 s16, s16, 8
	s_addc_u32 s17, s17, 0
	s_cmp_lg_u32 s21, s18
	v_or_b32_e32 v18, v20, v18
	v_or_b32_e32 v19, v21, v19
	s_cbranch_scc1 .LBB4_1462
.LBB4_1463:                             ;   in Loop: Header=BB4_1424 Depth=1
	s_mov_b32 s22, 0
	s_cbranch_execz .LBB4_1465
	s_branch .LBB4_1466
.LBB4_1464:                             ;   in Loop: Header=BB4_1424 Depth=1
                                        ; implicit-def: $vgpr18_vgpr19
                                        ; implicit-def: $sgpr22
.LBB4_1465:                             ;   in Loop: Header=BB4_1424 Depth=1
	global_load_dwordx2 v[18:19], v3, s[4:5]
	s_add_i32 s22, s21, -8
	s_add_u32 s4, s4, 8
	s_addc_u32 s5, s5, 0
.LBB4_1466:                             ;   in Loop: Header=BB4_1424 Depth=1
	s_cmp_gt_u32 s22, 7
	s_cbranch_scc1 .LBB4_1471
; %bb.1467:                             ;   in Loop: Header=BB4_1424 Depth=1
	v_mov_b32_e32 v20, 0
	v_mov_b32_e32 v21, 0
	s_cmp_eq_u32 s22, 0
	s_cbranch_scc1 .LBB4_1470
; %bb.1468:                             ;   in Loop: Header=BB4_1424 Depth=1
	s_mov_b64 s[16:17], 0
	s_mov_b64 s[18:19], s[4:5]
.LBB4_1469:                             ;   Parent Loop BB4_1424 Depth=1
                                        ; =>  This Inner Loop Header: Depth=2
	global_load_ubyte v2, v3, s[18:19]
	s_add_i32 s22, s22, -1
	s_waitcnt vmcnt(0)
	v_and_b32_e32 v2, 0xffff, v2
	v_lshlrev_b64 v[22:23], s16, v[2:3]
	s_add_u32 s16, s16, 8
	s_addc_u32 s17, s17, 0
	s_add_u32 s18, s18, 1
	s_addc_u32 s19, s19, 0
	s_cmp_lg_u32 s22, 0
	v_or_b32_e32 v20, v22, v20
	v_or_b32_e32 v21, v23, v21
	s_cbranch_scc1 .LBB4_1469
.LBB4_1470:                             ;   in Loop: Header=BB4_1424 Depth=1
	s_cbranch_execz .LBB4_1472
	s_branch .LBB4_1473
.LBB4_1471:                             ;   in Loop: Header=BB4_1424 Depth=1
.LBB4_1472:                             ;   in Loop: Header=BB4_1424 Depth=1
	global_load_dwordx2 v[20:21], v3, s[4:5]
.LBB4_1473:                             ;   in Loop: Header=BB4_1424 Depth=1
	v_readfirstlane_b32 s4, v37
	v_mov_b32_e32 v26, 0
	v_mov_b32_e32 v27, 0
	v_cmp_eq_u32_e64 s4, s4, v37
	s_and_saveexec_b32 s5, s4
	s_cbranch_execz .LBB4_1479
; %bb.1474:                             ;   in Loop: Header=BB4_1424 Depth=1
	global_load_dwordx2 v[24:25], v3, s[26:27] offset:24 glc dlc
	s_waitcnt vmcnt(0)
	buffer_gl1_inv
	buffer_gl0_inv
	s_clause 0x1
	global_load_dwordx2 v[22:23], v3, s[26:27] offset:40
	global_load_dwordx2 v[26:27], v3, s[26:27]
	s_mov_b32 s16, exec_lo
	s_waitcnt vmcnt(1)
	v_and_b32_e32 v2, v23, v25
	v_and_b32_e32 v22, v22, v24
	v_mul_lo_u32 v2, v2, 24
	v_mul_hi_u32 v23, v22, 24
	v_mul_lo_u32 v22, v22, 24
	v_add_nc_u32_e32 v2, v23, v2
	s_waitcnt vmcnt(0)
	v_add_co_u32 v22, vcc_lo, v26, v22
	v_add_co_ci_u32_e32 v23, vcc_lo, v27, v2, vcc_lo
	global_load_dwordx2 v[22:23], v[22:23], off glc dlc
	s_waitcnt vmcnt(0)
	global_atomic_cmpswap_x2 v[26:27], v3, v[22:25], s[26:27] offset:24 glc
	s_waitcnt vmcnt(0)
	buffer_gl1_inv
	buffer_gl0_inv
	v_cmpx_ne_u64_e64 v[26:27], v[24:25]
	s_cbranch_execz .LBB4_1478
; %bb.1475:                             ;   in Loop: Header=BB4_1424 Depth=1
	s_mov_b32 s17, 0
	.p2align	6
.LBB4_1476:                             ;   Parent Loop BB4_1424 Depth=1
                                        ; =>  This Inner Loop Header: Depth=2
	s_sleep 1
	s_clause 0x1
	global_load_dwordx2 v[22:23], v3, s[26:27] offset:40
	global_load_dwordx2 v[28:29], v3, s[26:27]
	v_mov_b32_e32 v24, v26
	v_mov_b32_e32 v25, v27
	s_waitcnt vmcnt(1)
	v_and_b32_e32 v2, v22, v24
	v_and_b32_e32 v22, v23, v25
	s_waitcnt vmcnt(0)
	v_mad_u64_u32 v[26:27], null, v2, 24, v[28:29]
	v_mov_b32_e32 v2, v27
	v_mad_u64_u32 v[22:23], null, v22, 24, v[2:3]
	v_mov_b32_e32 v27, v22
	global_load_dwordx2 v[22:23], v[26:27], off glc dlc
	s_waitcnt vmcnt(0)
	global_atomic_cmpswap_x2 v[26:27], v3, v[22:25], s[26:27] offset:24 glc
	s_waitcnt vmcnt(0)
	buffer_gl1_inv
	buffer_gl0_inv
	v_cmp_eq_u64_e32 vcc_lo, v[26:27], v[24:25]
	s_or_b32 s17, vcc_lo, s17
	s_andn2_b32 exec_lo, exec_lo, s17
	s_cbranch_execnz .LBB4_1476
; %bb.1477:                             ;   in Loop: Header=BB4_1424 Depth=1
	s_or_b32 exec_lo, exec_lo, s17
.LBB4_1478:                             ;   in Loop: Header=BB4_1424 Depth=1
	s_or_b32 exec_lo, exec_lo, s16
.LBB4_1479:                             ;   in Loop: Header=BB4_1424 Depth=1
	s_or_b32 exec_lo, exec_lo, s5
	s_clause 0x1
	global_load_dwordx2 v[28:29], v3, s[26:27] offset:40
	global_load_dwordx4 v[22:25], v3, s[26:27]
	v_readfirstlane_b32 s16, v26
	v_readfirstlane_b32 s17, v27
	s_mov_b32 s5, exec_lo
	s_waitcnt vmcnt(1)
	v_readfirstlane_b32 s18, v28
	v_readfirstlane_b32 s19, v29
	s_and_b64 s[18:19], s[16:17], s[18:19]
	s_mul_i32 s21, s19, 24
	s_mul_hi_u32 s22, s18, 24
	s_mul_i32 s23, s18, 24
	s_add_i32 s22, s22, s21
	s_waitcnt vmcnt(0)
	v_add_co_u32 v26, vcc_lo, v22, s23
	v_add_co_ci_u32_e32 v27, vcc_lo, s22, v23, vcc_lo
	s_and_saveexec_b32 s21, s4
	s_cbranch_execz .LBB4_1481
; %bb.1480:                             ;   in Loop: Header=BB4_1424 Depth=1
	v_mov_b32_e32 v2, s5
	global_store_dwordx4 v[26:27], v[2:5], off offset:8
.LBB4_1481:                             ;   in Loop: Header=BB4_1424 Depth=1
	s_or_b32 exec_lo, exec_lo, s21
	s_lshl_b64 s[18:19], s[18:19], 12
	v_or_b32_e32 v2, 2, v6
	v_add_co_u32 v24, vcc_lo, v24, s18
	v_add_co_ci_u32_e32 v25, vcc_lo, s19, v25, vcc_lo
	v_cmp_gt_u64_e64 vcc_lo, s[12:13], 56
	s_lshl_b32 s5, s14, 2
	v_readfirstlane_b32 s18, v24
	s_add_i32 s5, s5, 28
	v_readfirstlane_b32 s19, v25
	s_and_b32 s5, s5, 0x1e0
	v_cndmask_b32_e32 v2, v2, v6, vcc_lo
	v_and_or_b32 v6, 0xffffff1f, v2, s5
	global_store_dwordx4 v36, v[10:13], s[18:19] offset:16
	global_store_dwordx4 v36, v[6:9], s[18:19]
	global_store_dwordx4 v36, v[14:17], s[18:19] offset:32
	global_store_dwordx4 v36, v[18:21], s[18:19] offset:48
	s_and_saveexec_b32 s5, s4
	s_cbranch_execz .LBB4_1489
; %bb.1482:                             ;   in Loop: Header=BB4_1424 Depth=1
	s_clause 0x1
	global_load_dwordx2 v[14:15], v3, s[26:27] offset:32 glc dlc
	global_load_dwordx2 v[6:7], v3, s[26:27] offset:40
	v_mov_b32_e32 v12, s16
	v_mov_b32_e32 v13, s17
	s_waitcnt vmcnt(0)
	v_readfirstlane_b32 s18, v6
	v_readfirstlane_b32 s19, v7
	s_and_b64 s[18:19], s[18:19], s[16:17]
	s_mul_i32 s19, s19, 24
	s_mul_hi_u32 s21, s18, 24
	s_mul_i32 s18, s18, 24
	s_add_i32 s21, s21, s19
	v_add_co_u32 v10, vcc_lo, v22, s18
	v_add_co_ci_u32_e32 v11, vcc_lo, s21, v23, vcc_lo
	s_mov_b32 s18, exec_lo
	global_store_dwordx2 v[10:11], v[14:15], off
	s_waitcnt_vscnt null, 0x0
	global_atomic_cmpswap_x2 v[8:9], v3, v[12:15], s[26:27] offset:32 glc
	s_waitcnt vmcnt(0)
	v_cmpx_ne_u64_e64 v[8:9], v[14:15]
	s_cbranch_execz .LBB4_1485
; %bb.1483:                             ;   in Loop: Header=BB4_1424 Depth=1
	s_mov_b32 s19, 0
.LBB4_1484:                             ;   Parent Loop BB4_1424 Depth=1
                                        ; =>  This Inner Loop Header: Depth=2
	v_mov_b32_e32 v6, s16
	v_mov_b32_e32 v7, s17
	s_sleep 1
	global_store_dwordx2 v[10:11], v[8:9], off
	s_waitcnt_vscnt null, 0x0
	global_atomic_cmpswap_x2 v[6:7], v3, v[6:9], s[26:27] offset:32 glc
	s_waitcnt vmcnt(0)
	v_cmp_eq_u64_e32 vcc_lo, v[6:7], v[8:9]
	v_mov_b32_e32 v9, v7
	v_mov_b32_e32 v8, v6
	s_or_b32 s19, vcc_lo, s19
	s_andn2_b32 exec_lo, exec_lo, s19
	s_cbranch_execnz .LBB4_1484
.LBB4_1485:                             ;   in Loop: Header=BB4_1424 Depth=1
	s_or_b32 exec_lo, exec_lo, s18
	global_load_dwordx2 v[6:7], v3, s[26:27] offset:16
	s_mov_b32 s19, exec_lo
	s_mov_b32 s18, exec_lo
	v_mbcnt_lo_u32_b32 v2, s19, 0
	v_cmpx_eq_u32_e32 0, v2
	s_cbranch_execz .LBB4_1487
; %bb.1486:                             ;   in Loop: Header=BB4_1424 Depth=1
	s_bcnt1_i32_b32 s19, s19
	v_mov_b32_e32 v2, s19
	s_waitcnt vmcnt(0)
	global_atomic_add_x2 v[6:7], v[2:3], off offset:8
.LBB4_1487:                             ;   in Loop: Header=BB4_1424 Depth=1
	s_or_b32 exec_lo, exec_lo, s18
	s_waitcnt vmcnt(0)
	global_load_dwordx2 v[8:9], v[6:7], off offset:16
	s_waitcnt vmcnt(0)
	v_cmp_eq_u64_e32 vcc_lo, 0, v[8:9]
	s_cbranch_vccnz .LBB4_1489
; %bb.1488:                             ;   in Loop: Header=BB4_1424 Depth=1
	global_load_dword v2, v[6:7], off offset:24
	s_waitcnt vmcnt(0)
	v_and_b32_e32 v6, 0x7fffff, v2
	s_waitcnt_vscnt null, 0x0
	global_store_dwordx2 v[8:9], v[2:3], off
	v_readfirstlane_b32 m0, v6
	s_sendmsg sendmsg(MSG_INTERRUPT)
.LBB4_1489:                             ;   in Loop: Header=BB4_1424 Depth=1
	s_or_b32 exec_lo, exec_lo, s5
	v_add_co_u32 v6, vcc_lo, v24, v36
	v_add_co_ci_u32_e32 v7, vcc_lo, 0, v25, vcc_lo
	s_branch .LBB4_1493
	.p2align	6
.LBB4_1490:                             ;   in Loop: Header=BB4_1493 Depth=2
	s_or_b32 exec_lo, exec_lo, s5
	v_readfirstlane_b32 s5, v2
	s_cmp_eq_u32 s5, 0
	s_cbranch_scc1 .LBB4_1492
; %bb.1491:                             ;   in Loop: Header=BB4_1493 Depth=2
	s_sleep 1
	s_cbranch_execnz .LBB4_1493
	s_branch .LBB4_1495
	.p2align	6
.LBB4_1492:                             ;   in Loop: Header=BB4_1424 Depth=1
	s_branch .LBB4_1495
.LBB4_1493:                             ;   Parent Loop BB4_1424 Depth=1
                                        ; =>  This Inner Loop Header: Depth=2
	v_mov_b32_e32 v2, 1
	s_and_saveexec_b32 s5, s4
	s_cbranch_execz .LBB4_1490
; %bb.1494:                             ;   in Loop: Header=BB4_1493 Depth=2
	global_load_dword v2, v[26:27], off offset:20 glc dlc
	s_waitcnt vmcnt(0)
	buffer_gl1_inv
	buffer_gl0_inv
	v_and_b32_e32 v2, 1, v2
	s_branch .LBB4_1490
.LBB4_1495:                             ;   in Loop: Header=BB4_1424 Depth=1
	global_load_dwordx4 v[6:9], v[6:7], off
	s_and_saveexec_b32 s5, s4
	s_cbranch_execz .LBB4_1423
; %bb.1496:                             ;   in Loop: Header=BB4_1424 Depth=1
	s_clause 0x2
	global_load_dwordx2 v[10:11], v3, s[26:27] offset:40
	global_load_dwordx2 v[14:15], v3, s[26:27] offset:24 glc dlc
	global_load_dwordx2 v[12:13], v3, s[26:27]
	s_waitcnt vmcnt(2)
	v_add_co_u32 v2, vcc_lo, v10, 1
	v_add_co_ci_u32_e32 v16, vcc_lo, 0, v11, vcc_lo
	v_add_co_u32 v8, vcc_lo, v2, s16
	v_add_co_ci_u32_e32 v9, vcc_lo, s17, v16, vcc_lo
	v_cmp_eq_u64_e32 vcc_lo, 0, v[8:9]
	v_cndmask_b32_e32 v9, v9, v16, vcc_lo
	v_cndmask_b32_e32 v8, v8, v2, vcc_lo
	v_and_b32_e32 v2, v9, v11
	v_and_b32_e32 v10, v8, v10
	v_mul_lo_u32 v2, v2, 24
	v_mul_hi_u32 v11, v10, 24
	v_mul_lo_u32 v10, v10, 24
	v_add_nc_u32_e32 v2, v11, v2
	s_waitcnt vmcnt(0)
	v_add_co_u32 v12, vcc_lo, v12, v10
	v_mov_b32_e32 v10, v14
	v_mov_b32_e32 v11, v15
	v_add_co_ci_u32_e32 v13, vcc_lo, v13, v2, vcc_lo
	global_store_dwordx2 v[12:13], v[14:15], off
	s_waitcnt_vscnt null, 0x0
	global_atomic_cmpswap_x2 v[10:11], v3, v[8:11], s[26:27] offset:24 glc
	s_waitcnt vmcnt(0)
	v_cmp_ne_u64_e32 vcc_lo, v[10:11], v[14:15]
	s_and_b32 exec_lo, exec_lo, vcc_lo
	s_cbranch_execz .LBB4_1423
; %bb.1497:                             ;   in Loop: Header=BB4_1424 Depth=1
	s_mov_b32 s4, 0
.LBB4_1498:                             ;   Parent Loop BB4_1424 Depth=1
                                        ; =>  This Inner Loop Header: Depth=2
	s_sleep 1
	global_store_dwordx2 v[12:13], v[10:11], off
	s_waitcnt_vscnt null, 0x0
	global_atomic_cmpswap_x2 v[14:15], v3, v[8:11], s[26:27] offset:24 glc
	s_waitcnt vmcnt(0)
	v_cmp_eq_u64_e32 vcc_lo, v[14:15], v[10:11]
	v_mov_b32_e32 v10, v14
	v_mov_b32_e32 v11, v15
	s_or_b32 s4, vcc_lo, s4
	s_andn2_b32 exec_lo, exec_lo, s4
	s_cbranch_execnz .LBB4_1498
	s_branch .LBB4_1423
.LBB4_1499:
	s_mov_b32 s35, s10
	s_mov_b32 s36, s11
	s_branch .LBB4_1528
.LBB4_1500:
	s_mov_b32 s35, s10
	s_mov_b32 s36, s11
	s_cbranch_execz .LBB4_1528
; %bb.1501:
	v_readfirstlane_b32 s4, v37
	s_waitcnt vmcnt(0)
	v_mov_b32_e32 v8, 0
	v_mov_b32_e32 v9, 0
	v_cmp_eq_u32_e64 s4, s4, v37
	s_and_saveexec_b32 s5, s4
	s_cbranch_execz .LBB4_1507
; %bb.1502:
	v_mov_b32_e32 v2, 0
	s_mov_b32 s8, exec_lo
	global_load_dwordx2 v[5:6], v2, s[26:27] offset:24 glc dlc
	s_waitcnt vmcnt(0)
	buffer_gl1_inv
	buffer_gl0_inv
	s_clause 0x1
	global_load_dwordx2 v[3:4], v2, s[26:27] offset:40
	global_load_dwordx2 v[7:8], v2, s[26:27]
	s_waitcnt vmcnt(1)
	v_and_b32_e32 v4, v4, v6
	v_and_b32_e32 v3, v3, v5
	v_mul_lo_u32 v4, v4, 24
	v_mul_hi_u32 v9, v3, 24
	v_mul_lo_u32 v3, v3, 24
	v_add_nc_u32_e32 v4, v9, v4
	s_waitcnt vmcnt(0)
	v_add_co_u32 v3, vcc_lo, v7, v3
	v_add_co_ci_u32_e32 v4, vcc_lo, v8, v4, vcc_lo
	global_load_dwordx2 v[3:4], v[3:4], off glc dlc
	s_waitcnt vmcnt(0)
	global_atomic_cmpswap_x2 v[8:9], v2, v[3:6], s[26:27] offset:24 glc
	s_waitcnt vmcnt(0)
	buffer_gl1_inv
	buffer_gl0_inv
	v_cmpx_ne_u64_e64 v[8:9], v[5:6]
	s_cbranch_execz .LBB4_1506
; %bb.1503:
	s_mov_b32 s9, 0
.LBB4_1504:                             ; =>This Inner Loop Header: Depth=1
	s_sleep 1
	s_clause 0x1
	global_load_dwordx2 v[3:4], v2, s[26:27] offset:40
	global_load_dwordx2 v[10:11], v2, s[26:27]
	v_mov_b32_e32 v5, v8
	v_mov_b32_e32 v6, v9
	s_waitcnt vmcnt(1)
	v_and_b32_e32 v3, v3, v5
	v_and_b32_e32 v4, v4, v6
	s_waitcnt vmcnt(0)
	v_mad_u64_u32 v[7:8], null, v3, 24, v[10:11]
	v_mov_b32_e32 v3, v8
	v_mad_u64_u32 v[3:4], null, v4, 24, v[3:4]
	v_mov_b32_e32 v8, v3
	global_load_dwordx2 v[3:4], v[7:8], off glc dlc
	s_waitcnt vmcnt(0)
	global_atomic_cmpswap_x2 v[8:9], v2, v[3:6], s[26:27] offset:24 glc
	s_waitcnt vmcnt(0)
	buffer_gl1_inv
	buffer_gl0_inv
	v_cmp_eq_u64_e32 vcc_lo, v[8:9], v[5:6]
	s_or_b32 s9, vcc_lo, s9
	s_andn2_b32 exec_lo, exec_lo, s9
	s_cbranch_execnz .LBB4_1504
; %bb.1505:
	s_or_b32 exec_lo, exec_lo, s9
.LBB4_1506:
	s_or_b32 exec_lo, exec_lo, s8
.LBB4_1507:
	s_or_b32 exec_lo, exec_lo, s5
	v_mov_b32_e32 v2, 0
	v_readfirstlane_b32 s8, v8
	v_readfirstlane_b32 s9, v9
	s_mov_b32 s5, exec_lo
	s_clause 0x1
	global_load_dwordx2 v[10:11], v2, s[26:27] offset:40
	global_load_dwordx4 v[4:7], v2, s[26:27]
	s_waitcnt vmcnt(1)
	v_readfirstlane_b32 s10, v10
	v_readfirstlane_b32 s11, v11
	s_and_b64 s[10:11], s[8:9], s[10:11]
	s_mul_i32 s12, s11, 24
	s_mul_hi_u32 s13, s10, 24
	s_mul_i32 s14, s10, 24
	s_add_i32 s13, s13, s12
	s_waitcnt vmcnt(0)
	v_add_co_u32 v8, vcc_lo, v4, s14
	v_add_co_ci_u32_e32 v9, vcc_lo, s13, v5, vcc_lo
	s_and_saveexec_b32 s12, s4
	s_cbranch_execz .LBB4_1509
; %bb.1508:
	v_mov_b32_e32 v10, s5
	v_mov_b32_e32 v11, v2
	;; [unrolled: 1-line block ×4, first 2 shown]
	global_store_dwordx4 v[8:9], v[10:13], off offset:8
.LBB4_1509:
	s_or_b32 exec_lo, exec_lo, s12
	s_lshl_b64 s[10:11], s[10:11], 12
	s_mov_b32 s12, 0
	v_add_co_u32 v6, vcc_lo, v6, s10
	v_add_co_ci_u32_e32 v7, vcc_lo, s11, v7, vcc_lo
	s_mov_b32 s13, s12
	s_mov_b32 s14, s12
	;; [unrolled: 1-line block ×3, first 2 shown]
	v_and_or_b32 v0, 0xffffff1d, v0, 34
	v_mov_b32_e32 v3, v2
	v_readfirstlane_b32 s10, v6
	v_readfirstlane_b32 s11, v7
	v_mov_b32_e32 v10, s12
	v_mov_b32_e32 v11, s13
	;; [unrolled: 1-line block ×4, first 2 shown]
	global_store_dwordx4 v36, v[0:3], s[10:11]
	global_store_dwordx4 v36, v[10:13], s[10:11] offset:16
	global_store_dwordx4 v36, v[10:13], s[10:11] offset:32
	;; [unrolled: 1-line block ×3, first 2 shown]
	s_and_saveexec_b32 s5, s4
	s_cbranch_execz .LBB4_1517
; %bb.1510:
	v_mov_b32_e32 v6, 0
	v_mov_b32_e32 v10, s8
	;; [unrolled: 1-line block ×3, first 2 shown]
	s_clause 0x1
	global_load_dwordx2 v[12:13], v6, s[26:27] offset:32 glc dlc
	global_load_dwordx2 v[0:1], v6, s[26:27] offset:40
	s_waitcnt vmcnt(0)
	v_readfirstlane_b32 s10, v0
	v_readfirstlane_b32 s11, v1
	s_and_b64 s[10:11], s[10:11], s[8:9]
	s_mul_i32 s11, s11, 24
	s_mul_hi_u32 s12, s10, 24
	s_mul_i32 s10, s10, 24
	s_add_i32 s12, s12, s11
	v_add_co_u32 v4, vcc_lo, v4, s10
	v_add_co_ci_u32_e32 v5, vcc_lo, s12, v5, vcc_lo
	s_mov_b32 s10, exec_lo
	global_store_dwordx2 v[4:5], v[12:13], off
	s_waitcnt_vscnt null, 0x0
	global_atomic_cmpswap_x2 v[2:3], v6, v[10:13], s[26:27] offset:32 glc
	s_waitcnt vmcnt(0)
	v_cmpx_ne_u64_e64 v[2:3], v[12:13]
	s_cbranch_execz .LBB4_1513
; %bb.1511:
	s_mov_b32 s11, 0
.LBB4_1512:                             ; =>This Inner Loop Header: Depth=1
	v_mov_b32_e32 v0, s8
	v_mov_b32_e32 v1, s9
	s_sleep 1
	global_store_dwordx2 v[4:5], v[2:3], off
	s_waitcnt_vscnt null, 0x0
	global_atomic_cmpswap_x2 v[0:1], v6, v[0:3], s[26:27] offset:32 glc
	s_waitcnt vmcnt(0)
	v_cmp_eq_u64_e32 vcc_lo, v[0:1], v[2:3]
	v_mov_b32_e32 v3, v1
	v_mov_b32_e32 v2, v0
	s_or_b32 s11, vcc_lo, s11
	s_andn2_b32 exec_lo, exec_lo, s11
	s_cbranch_execnz .LBB4_1512
.LBB4_1513:
	s_or_b32 exec_lo, exec_lo, s10
	v_mov_b32_e32 v3, 0
	s_mov_b32 s11, exec_lo
	s_mov_b32 s10, exec_lo
	v_mbcnt_lo_u32_b32 v2, s11, 0
	global_load_dwordx2 v[0:1], v3, s[26:27] offset:16
	v_cmpx_eq_u32_e32 0, v2
	s_cbranch_execz .LBB4_1515
; %bb.1514:
	s_bcnt1_i32_b32 s11, s11
	v_mov_b32_e32 v2, s11
	s_waitcnt vmcnt(0)
	global_atomic_add_x2 v[0:1], v[2:3], off offset:8
.LBB4_1515:
	s_or_b32 exec_lo, exec_lo, s10
	s_waitcnt vmcnt(0)
	global_load_dwordx2 v[2:3], v[0:1], off offset:16
	s_waitcnt vmcnt(0)
	v_cmp_eq_u64_e32 vcc_lo, 0, v[2:3]
	s_cbranch_vccnz .LBB4_1517
; %bb.1516:
	global_load_dword v0, v[0:1], off offset:24
	v_mov_b32_e32 v1, 0
	s_waitcnt vmcnt(0)
	v_and_b32_e32 v4, 0x7fffff, v0
	s_waitcnt_vscnt null, 0x0
	global_store_dwordx2 v[2:3], v[0:1], off
	v_readfirstlane_b32 m0, v4
	s_sendmsg sendmsg(MSG_INTERRUPT)
.LBB4_1517:
	s_or_b32 exec_lo, exec_lo, s5
	s_branch .LBB4_1521
	.p2align	6
.LBB4_1518:                             ;   in Loop: Header=BB4_1521 Depth=1
	s_or_b32 exec_lo, exec_lo, s5
	v_readfirstlane_b32 s5, v0
	s_cmp_eq_u32 s5, 0
	s_cbranch_scc1 .LBB4_1520
; %bb.1519:                             ;   in Loop: Header=BB4_1521 Depth=1
	s_sleep 1
	s_cbranch_execnz .LBB4_1521
	s_branch .LBB4_1523
	.p2align	6
.LBB4_1520:
	s_branch .LBB4_1523
.LBB4_1521:                             ; =>This Inner Loop Header: Depth=1
	v_mov_b32_e32 v0, 1
	s_and_saveexec_b32 s5, s4
	s_cbranch_execz .LBB4_1518
; %bb.1522:                             ;   in Loop: Header=BB4_1521 Depth=1
	global_load_dword v0, v[8:9], off offset:20 glc dlc
	s_waitcnt vmcnt(0)
	buffer_gl1_inv
	buffer_gl0_inv
	v_and_b32_e32 v0, 1, v0
	s_branch .LBB4_1518
.LBB4_1523:
	s_and_saveexec_b32 s5, s4
	s_cbranch_execz .LBB4_1527
; %bb.1524:
	v_mov_b32_e32 v6, 0
	s_clause 0x2
	global_load_dwordx2 v[2:3], v6, s[26:27] offset:40
	global_load_dwordx2 v[7:8], v6, s[26:27] offset:24 glc dlc
	global_load_dwordx2 v[4:5], v6, s[26:27]
	s_waitcnt vmcnt(2)
	v_add_co_u32 v9, vcc_lo, v2, 1
	v_add_co_ci_u32_e32 v10, vcc_lo, 0, v3, vcc_lo
	v_add_co_u32 v0, vcc_lo, v9, s8
	v_add_co_ci_u32_e32 v1, vcc_lo, s9, v10, vcc_lo
	v_cmp_eq_u64_e32 vcc_lo, 0, v[0:1]
	v_cndmask_b32_e32 v1, v1, v10, vcc_lo
	v_cndmask_b32_e32 v0, v0, v9, vcc_lo
	v_and_b32_e32 v3, v1, v3
	v_and_b32_e32 v2, v0, v2
	v_mul_lo_u32 v3, v3, 24
	v_mul_hi_u32 v9, v2, 24
	v_mul_lo_u32 v2, v2, 24
	v_add_nc_u32_e32 v3, v9, v3
	s_waitcnt vmcnt(0)
	v_add_co_u32 v4, vcc_lo, v4, v2
	v_mov_b32_e32 v2, v7
	v_add_co_ci_u32_e32 v5, vcc_lo, v5, v3, vcc_lo
	v_mov_b32_e32 v3, v8
	global_store_dwordx2 v[4:5], v[7:8], off
	s_waitcnt_vscnt null, 0x0
	global_atomic_cmpswap_x2 v[2:3], v6, v[0:3], s[26:27] offset:24 glc
	s_waitcnt vmcnt(0)
	v_cmp_ne_u64_e32 vcc_lo, v[2:3], v[7:8]
	s_and_b32 exec_lo, exec_lo, vcc_lo
	s_cbranch_execz .LBB4_1527
; %bb.1525:
	s_mov_b32 s4, 0
.LBB4_1526:                             ; =>This Inner Loop Header: Depth=1
	s_sleep 1
	global_store_dwordx2 v[4:5], v[2:3], off
	s_waitcnt_vscnt null, 0x0
	global_atomic_cmpswap_x2 v[7:8], v6, v[0:3], s[26:27] offset:24 glc
	s_waitcnt vmcnt(0)
	v_cmp_eq_u64_e32 vcc_lo, v[7:8], v[2:3]
	v_mov_b32_e32 v2, v7
	v_mov_b32_e32 v3, v8
	s_or_b32 s4, vcc_lo, s4
	s_andn2_b32 exec_lo, exec_lo, s4
	s_cbranch_execnz .LBB4_1526
.LBB4_1527:
	s_or_b32 exec_lo, exec_lo, s5
.LBB4_1528:
	s_xor_b32 s22, s20, -1
	s_add_u32 s24, s6, 16
	s_addc_u32 s25, s7, 0
	s_getpc_b64 s[4:5]
	s_add_u32 s4, s4, .str@rel32@lo+4
	s_addc_u32 s5, s5, .str@rel32@hi+12
	s_waitcnt vmcnt(0)
	v_mov_b32_e32 v0, s4
	v_mov_b32_e32 v1, s5
	s_mov_b64 s[8:9], s[24:25]
	s_mov_b64 s[28:29], s[6:7]
	s_getpc_b64 s[38:39]
	s_add_u32 s38, s38, _ZNK8migraphx13basic_printerIZNS_4coutEvEUlT_E_ElsEPKc@rel32@lo+4
	s_addc_u32 s39, s39, _ZNK8migraphx13basic_printerIZNS_4coutEvEUlT_E_ElsEPKc@rel32@hi+12
	s_swappc_b64 s[30:31], s[38:39]
	s_getpc_b64 s[4:5]
	s_add_u32 s4, s4, .str.3@rel32@lo+4
	s_addc_u32 s5, s5, .str.3@rel32@hi+12
	v_mov_b32_e32 v0, s4
	v_mov_b32_e32 v1, s5
	s_mov_b64 s[8:9], s[24:25]
	s_swappc_b64 s[30:31], s[38:39]
	v_cndmask_b32_e64 v0, 0, 1, s22
	s_mov_b64 s[8:9], s[24:25]
	s_getpc_b64 s[4:5]
	s_add_u32 s4, s4, _ZN8migraphx4testlsIKNS_13basic_printerIZNS_4coutEvEUlT_E_EEEERS3_S7_RKNS0_14lhs_expressionIbNS0_3nopEEE@rel32@lo+4
	s_addc_u32 s5, s5, _ZN8migraphx4testlsIKNS_13basic_printerIZNS_4coutEvEUlT_E_EEEERS3_S7_RKNS0_14lhs_expressionIbNS0_3nopEEE@rel32@hi+12
	s_swappc_b64 s[30:31], s[4:5]
	s_getpc_b64 s[4:5]
	s_add_u32 s4, s4, .str.4@rel32@lo+4
	s_addc_u32 s5, s5, .str.4@rel32@hi+12
	v_mov_b32_e32 v0, s4
	v_mov_b32_e32 v1, s5
	s_mov_b64 s[8:9], s[24:25]
	s_swappc_b64 s[30:31], s[38:39]
	v_readfirstlane_b32 s4, v37
	v_mov_b32_e32 v6, 0
	v_mov_b32_e32 v7, 0
	v_cmp_eq_u32_e64 s4, s4, v37
	s_and_saveexec_b32 s5, s4
	s_mov_b32 s11, s36
	s_mov_b32 s10, s35
	s_cbranch_execz .LBB4_1534
; %bb.1529:
	v_mov_b32_e32 v0, 0
	s_mov_b32 s6, exec_lo
	global_load_dwordx2 v[3:4], v0, s[26:27] offset:24 glc dlc
	s_waitcnt vmcnt(0)
	buffer_gl1_inv
	buffer_gl0_inv
	s_clause 0x1
	global_load_dwordx2 v[1:2], v0, s[26:27] offset:40
	global_load_dwordx2 v[5:6], v0, s[26:27]
	s_waitcnt vmcnt(1)
	v_and_b32_e32 v2, v2, v4
	v_and_b32_e32 v1, v1, v3
	v_mul_lo_u32 v2, v2, 24
	v_mul_hi_u32 v7, v1, 24
	v_mul_lo_u32 v1, v1, 24
	v_add_nc_u32_e32 v2, v7, v2
	s_waitcnt vmcnt(0)
	v_add_co_u32 v1, vcc_lo, v5, v1
	v_add_co_ci_u32_e32 v2, vcc_lo, v6, v2, vcc_lo
	global_load_dwordx2 v[1:2], v[1:2], off glc dlc
	s_waitcnt vmcnt(0)
	global_atomic_cmpswap_x2 v[6:7], v0, v[1:4], s[26:27] offset:24 glc
	s_waitcnt vmcnt(0)
	buffer_gl1_inv
	buffer_gl0_inv
	v_cmpx_ne_u64_e64 v[6:7], v[3:4]
	s_cbranch_execz .LBB4_1533
; %bb.1530:
	s_mov_b32 s7, 0
	.p2align	6
.LBB4_1531:                             ; =>This Inner Loop Header: Depth=1
	s_sleep 1
	s_clause 0x1
	global_load_dwordx2 v[1:2], v0, s[26:27] offset:40
	global_load_dwordx2 v[8:9], v0, s[26:27]
	v_mov_b32_e32 v3, v6
	v_mov_b32_e32 v4, v7
	s_waitcnt vmcnt(1)
	v_and_b32_e32 v1, v1, v3
	v_and_b32_e32 v2, v2, v4
	s_waitcnt vmcnt(0)
	v_mad_u64_u32 v[5:6], null, v1, 24, v[8:9]
	v_mov_b32_e32 v1, v6
	v_mad_u64_u32 v[1:2], null, v2, 24, v[1:2]
	v_mov_b32_e32 v6, v1
	global_load_dwordx2 v[1:2], v[5:6], off glc dlc
	s_waitcnt vmcnt(0)
	global_atomic_cmpswap_x2 v[6:7], v0, v[1:4], s[26:27] offset:24 glc
	s_waitcnt vmcnt(0)
	buffer_gl1_inv
	buffer_gl0_inv
	v_cmp_eq_u64_e32 vcc_lo, v[6:7], v[3:4]
	s_or_b32 s7, vcc_lo, s7
	s_andn2_b32 exec_lo, exec_lo, s7
	s_cbranch_execnz .LBB4_1531
; %bb.1532:
	s_or_b32 exec_lo, exec_lo, s7
.LBB4_1533:
	s_or_b32 exec_lo, exec_lo, s6
.LBB4_1534:
	s_or_b32 exec_lo, exec_lo, s5
	v_mov_b32_e32 v5, 0
	v_readfirstlane_b32 s8, v6
	v_readfirstlane_b32 s9, v7
	s_mov_b32 s5, exec_lo
	s_clause 0x1
	global_load_dwordx2 v[8:9], v5, s[26:27] offset:40
	global_load_dwordx4 v[0:3], v5, s[26:27]
	s_waitcnt vmcnt(1)
	v_readfirstlane_b32 s6, v8
	v_readfirstlane_b32 s7, v9
	s_and_b64 s[6:7], s[8:9], s[6:7]
	s_mul_i32 s12, s7, 24
	s_mul_hi_u32 s13, s6, 24
	s_mul_i32 s14, s6, 24
	s_add_i32 s13, s13, s12
	s_waitcnt vmcnt(0)
	v_add_co_u32 v8, vcc_lo, v0, s14
	v_add_co_ci_u32_e32 v9, vcc_lo, s13, v1, vcc_lo
	s_and_saveexec_b32 s12, s4
	s_cbranch_execz .LBB4_1536
; %bb.1535:
	v_mov_b32_e32 v4, s5
	v_mov_b32_e32 v6, 2
	;; [unrolled: 1-line block ×3, first 2 shown]
	global_store_dwordx4 v[8:9], v[4:7], off offset:8
.LBB4_1536:
	s_or_b32 exec_lo, exec_lo, s12
	s_lshl_b64 s[6:7], s[6:7], 12
	s_mov_b32 s12, 0
	v_add_co_u32 v2, vcc_lo, v2, s6
	v_add_co_ci_u32_e32 v3, vcc_lo, s7, v3, vcc_lo
	s_mov_b32 s13, s12
	v_add_co_u32 v10, vcc_lo, v2, v36
	s_mov_b32 s14, s12
	s_mov_b32 s15, s12
	v_mov_b32_e32 v4, 33
	v_mov_b32_e32 v6, v5
	;; [unrolled: 1-line block ×3, first 2 shown]
	v_readfirstlane_b32 s6, v2
	v_readfirstlane_b32 s7, v3
	v_mov_b32_e32 v12, s12
	v_add_co_ci_u32_e32 v11, vcc_lo, 0, v3, vcc_lo
	v_mov_b32_e32 v13, s13
	v_mov_b32_e32 v14, s14
	;; [unrolled: 1-line block ×3, first 2 shown]
	global_store_dwordx4 v36, v[4:7], s[6:7]
	global_store_dwordx4 v36, v[12:15], s[6:7] offset:16
	global_store_dwordx4 v36, v[12:15], s[6:7] offset:32
	global_store_dwordx4 v36, v[12:15], s[6:7] offset:48
	s_and_saveexec_b32 s5, s4
	s_mov_b64 s[6:7], s[28:29]
	s_cbranch_execz .LBB4_1544
; %bb.1537:
	v_mov_b32_e32 v6, 0
	v_mov_b32_e32 v12, s8
	;; [unrolled: 1-line block ×3, first 2 shown]
	s_clause 0x1
	global_load_dwordx2 v[14:15], v6, s[26:27] offset:32 glc dlc
	global_load_dwordx2 v[2:3], v6, s[26:27] offset:40
	s_waitcnt vmcnt(0)
	v_readfirstlane_b32 s12, v2
	v_readfirstlane_b32 s13, v3
	s_and_b64 s[12:13], s[12:13], s[8:9]
	s_mul_i32 s13, s13, 24
	s_mul_hi_u32 s14, s12, 24
	s_mul_i32 s12, s12, 24
	s_add_i32 s14, s14, s13
	v_add_co_u32 v4, vcc_lo, v0, s12
	v_add_co_ci_u32_e32 v5, vcc_lo, s14, v1, vcc_lo
	s_mov_b32 s12, exec_lo
	global_store_dwordx2 v[4:5], v[14:15], off
	s_waitcnt_vscnt null, 0x0
	global_atomic_cmpswap_x2 v[2:3], v6, v[12:15], s[26:27] offset:32 glc
	s_waitcnt vmcnt(0)
	v_cmpx_ne_u64_e64 v[2:3], v[14:15]
	s_cbranch_execz .LBB4_1540
; %bb.1538:
	s_mov_b32 s13, 0
.LBB4_1539:                             ; =>This Inner Loop Header: Depth=1
	v_mov_b32_e32 v0, s8
	v_mov_b32_e32 v1, s9
	s_sleep 1
	global_store_dwordx2 v[4:5], v[2:3], off
	s_waitcnt_vscnt null, 0x0
	global_atomic_cmpswap_x2 v[0:1], v6, v[0:3], s[26:27] offset:32 glc
	s_waitcnt vmcnt(0)
	v_cmp_eq_u64_e32 vcc_lo, v[0:1], v[2:3]
	v_mov_b32_e32 v3, v1
	v_mov_b32_e32 v2, v0
	s_or_b32 s13, vcc_lo, s13
	s_andn2_b32 exec_lo, exec_lo, s13
	s_cbranch_execnz .LBB4_1539
.LBB4_1540:
	s_or_b32 exec_lo, exec_lo, s12
	v_mov_b32_e32 v3, 0
	s_mov_b32 s13, exec_lo
	s_mov_b32 s12, exec_lo
	v_mbcnt_lo_u32_b32 v2, s13, 0
	global_load_dwordx2 v[0:1], v3, s[26:27] offset:16
	v_cmpx_eq_u32_e32 0, v2
	s_cbranch_execz .LBB4_1542
; %bb.1541:
	s_bcnt1_i32_b32 s13, s13
	v_mov_b32_e32 v2, s13
	s_waitcnt vmcnt(0)
	global_atomic_add_x2 v[0:1], v[2:3], off offset:8
.LBB4_1542:
	s_or_b32 exec_lo, exec_lo, s12
	s_waitcnt vmcnt(0)
	global_load_dwordx2 v[2:3], v[0:1], off offset:16
	s_waitcnt vmcnt(0)
	v_cmp_eq_u64_e32 vcc_lo, 0, v[2:3]
	s_cbranch_vccnz .LBB4_1544
; %bb.1543:
	global_load_dword v0, v[0:1], off offset:24
	v_mov_b32_e32 v1, 0
	s_waitcnt vmcnt(0)
	v_and_b32_e32 v4, 0x7fffff, v0
	s_waitcnt_vscnt null, 0x0
	global_store_dwordx2 v[2:3], v[0:1], off
	v_readfirstlane_b32 m0, v4
	s_sendmsg sendmsg(MSG_INTERRUPT)
.LBB4_1544:
	s_or_b32 exec_lo, exec_lo, s5
	s_branch .LBB4_1548
	.p2align	6
.LBB4_1545:                             ;   in Loop: Header=BB4_1548 Depth=1
	s_or_b32 exec_lo, exec_lo, s5
	v_readfirstlane_b32 s5, v0
	s_cmp_eq_u32 s5, 0
	s_cbranch_scc1 .LBB4_1547
; %bb.1546:                             ;   in Loop: Header=BB4_1548 Depth=1
	s_sleep 1
	s_cbranch_execnz .LBB4_1548
	s_branch .LBB4_1550
	.p2align	6
.LBB4_1547:
	s_branch .LBB4_1550
.LBB4_1548:                             ; =>This Inner Loop Header: Depth=1
	v_mov_b32_e32 v0, 1
	s_and_saveexec_b32 s5, s4
	s_cbranch_execz .LBB4_1545
; %bb.1549:                             ;   in Loop: Header=BB4_1548 Depth=1
	global_load_dword v0, v[8:9], off offset:20 glc dlc
	s_waitcnt vmcnt(0)
	buffer_gl1_inv
	buffer_gl0_inv
	v_and_b32_e32 v0, 1, v0
	s_branch .LBB4_1545
.LBB4_1550:
	global_load_dwordx2 v[0:1], v[10:11], off
	s_and_saveexec_b32 s5, s4
	s_cbranch_execz .LBB4_1554
; %bb.1551:
	v_mov_b32_e32 v8, 0
	s_clause 0x2
	global_load_dwordx2 v[4:5], v8, s[26:27] offset:40
	global_load_dwordx2 v[9:10], v8, s[26:27] offset:24 glc dlc
	global_load_dwordx2 v[6:7], v8, s[26:27]
	s_waitcnt vmcnt(2)
	v_add_co_u32 v11, vcc_lo, v4, 1
	v_add_co_ci_u32_e32 v12, vcc_lo, 0, v5, vcc_lo
	v_add_co_u32 v2, vcc_lo, v11, s8
	v_add_co_ci_u32_e32 v3, vcc_lo, s9, v12, vcc_lo
	v_cmp_eq_u64_e32 vcc_lo, 0, v[2:3]
	v_cndmask_b32_e32 v3, v3, v12, vcc_lo
	v_cndmask_b32_e32 v2, v2, v11, vcc_lo
	v_and_b32_e32 v5, v3, v5
	v_and_b32_e32 v4, v2, v4
	v_mul_lo_u32 v5, v5, 24
	v_mul_hi_u32 v11, v4, 24
	v_mul_lo_u32 v4, v4, 24
	v_add_nc_u32_e32 v5, v11, v5
	s_waitcnt vmcnt(0)
	v_add_co_u32 v6, vcc_lo, v6, v4
	v_mov_b32_e32 v4, v9
	v_add_co_ci_u32_e32 v7, vcc_lo, v7, v5, vcc_lo
	v_mov_b32_e32 v5, v10
	global_store_dwordx2 v[6:7], v[9:10], off
	s_waitcnt_vscnt null, 0x0
	global_atomic_cmpswap_x2 v[4:5], v8, v[2:5], s[26:27] offset:24 glc
	s_waitcnt vmcnt(0)
	v_cmp_ne_u64_e32 vcc_lo, v[4:5], v[9:10]
	s_and_b32 exec_lo, exec_lo, vcc_lo
	s_cbranch_execz .LBB4_1554
; %bb.1552:
	s_mov_b32 s4, 0
.LBB4_1553:                             ; =>This Inner Loop Header: Depth=1
	s_sleep 1
	global_store_dwordx2 v[6:7], v[4:5], off
	s_waitcnt_vscnt null, 0x0
	global_atomic_cmpswap_x2 v[9:10], v8, v[2:5], s[26:27] offset:24 glc
	s_waitcnt vmcnt(0)
	v_cmp_eq_u64_e32 vcc_lo, v[9:10], v[4:5]
	v_mov_b32_e32 v4, v9
	v_mov_b32_e32 v5, v10
	s_or_b32 s4, vcc_lo, s4
	s_andn2_b32 exec_lo, exec_lo, s4
	s_cbranch_execnz .LBB4_1553
.LBB4_1554:
	s_or_b32 exec_lo, exec_lo, s5
	s_and_b32 vcc_lo, exec_lo, s34
	s_cbranch_vccz .LBB4_1633
; %bb.1555:
	s_waitcnt vmcnt(0)
	v_and_b32_e32 v31, 2, v0
	v_mov_b32_e32 v6, 0
	v_and_b32_e32 v2, -3, v0
	v_mov_b32_e32 v3, v1
	v_mov_b32_e32 v7, 2
	;; [unrolled: 1-line block ×3, first 2 shown]
	s_mov_b64 s[12:13], 3
	s_getpc_b64 s[8:9]
	s_add_u32 s8, s8, .str.6@rel32@lo+4
	s_addc_u32 s9, s9, .str.6@rel32@hi+12
	s_branch .LBB4_1557
.LBB4_1556:                             ;   in Loop: Header=BB4_1557 Depth=1
	s_or_b32 exec_lo, exec_lo, s5
	s_sub_u32 s12, s12, s14
	s_subb_u32 s13, s13, s15
	s_add_u32 s8, s8, s14
	s_addc_u32 s9, s9, s15
	s_cmp_lg_u64 s[12:13], 0
	s_cbranch_scc0 .LBB4_1632
.LBB4_1557:                             ; =>This Loop Header: Depth=1
                                        ;     Child Loop BB4_1566 Depth 2
                                        ;     Child Loop BB4_1562 Depth 2
	;; [unrolled: 1-line block ×11, first 2 shown]
	v_cmp_lt_u64_e64 s4, s[12:13], 56
	v_cmp_gt_u64_e64 s5, s[12:13], 7
                                        ; implicit-def: $vgpr11_vgpr12
                                        ; implicit-def: $sgpr20
	s_and_b32 s4, s4, exec_lo
	s_cselect_b32 s15, s13, 0
	s_cselect_b32 s14, s12, 56
	s_and_b32 vcc_lo, exec_lo, s5
	s_mov_b32 s4, -1
	s_cbranch_vccz .LBB4_1564
; %bb.1558:                             ;   in Loop: Header=BB4_1557 Depth=1
	s_andn2_b32 vcc_lo, exec_lo, s4
	s_mov_b64 s[4:5], s[8:9]
	s_cbranch_vccz .LBB4_1568
.LBB4_1559:                             ;   in Loop: Header=BB4_1557 Depth=1
	s_cmp_gt_u32 s20, 7
	s_cbranch_scc1 .LBB4_1569
.LBB4_1560:                             ;   in Loop: Header=BB4_1557 Depth=1
	v_mov_b32_e32 v13, 0
	v_mov_b32_e32 v14, 0
	s_cmp_eq_u32 s20, 0
	s_cbranch_scc1 .LBB4_1563
; %bb.1561:                             ;   in Loop: Header=BB4_1557 Depth=1
	s_mov_b64 s[16:17], 0
	s_mov_b64 s[18:19], 0
.LBB4_1562:                             ;   Parent Loop BB4_1557 Depth=1
                                        ; =>  This Inner Loop Header: Depth=2
	s_add_u32 s22, s4, s18
	s_addc_u32 s23, s5, s19
	s_add_u32 s18, s18, 1
	global_load_ubyte v4, v6, s[22:23]
	s_addc_u32 s19, s19, 0
	s_waitcnt vmcnt(0)
	v_and_b32_e32 v5, 0xffff, v4
	v_lshlrev_b64 v[4:5], s16, v[5:6]
	s_add_u32 s16, s16, 8
	s_addc_u32 s17, s17, 0
	s_cmp_lg_u32 s20, s18
	v_or_b32_e32 v13, v4, v13
	v_or_b32_e32 v14, v5, v14
	s_cbranch_scc1 .LBB4_1562
.LBB4_1563:                             ;   in Loop: Header=BB4_1557 Depth=1
	s_mov_b32 s21, 0
	s_cbranch_execz .LBB4_1570
	s_branch .LBB4_1571
.LBB4_1564:                             ;   in Loop: Header=BB4_1557 Depth=1
	v_mov_b32_e32 v11, 0
	v_mov_b32_e32 v12, 0
	s_cmp_eq_u64 s[12:13], 0
	s_mov_b64 s[4:5], 0
	s_cbranch_scc1 .LBB4_1567
; %bb.1565:                             ;   in Loop: Header=BB4_1557 Depth=1
	v_mov_b32_e32 v11, 0
	v_mov_b32_e32 v12, 0
	s_lshl_b64 s[16:17], s[14:15], 3
	s_mov_b64 s[18:19], s[8:9]
.LBB4_1566:                             ;   Parent Loop BB4_1557 Depth=1
                                        ; =>  This Inner Loop Header: Depth=2
	global_load_ubyte v4, v6, s[18:19]
	s_waitcnt vmcnt(0)
	v_and_b32_e32 v5, 0xffff, v4
	v_lshlrev_b64 v[4:5], s4, v[5:6]
	s_add_u32 s4, s4, 8
	s_addc_u32 s5, s5, 0
	s_add_u32 s18, s18, 1
	s_addc_u32 s19, s19, 0
	s_cmp_lg_u32 s16, s4
	v_or_b32_e32 v11, v4, v11
	v_or_b32_e32 v12, v5, v12
	s_cbranch_scc1 .LBB4_1566
.LBB4_1567:                             ;   in Loop: Header=BB4_1557 Depth=1
	s_mov_b32 s20, 0
	s_mov_b64 s[4:5], s[8:9]
	s_cbranch_execnz .LBB4_1559
.LBB4_1568:                             ;   in Loop: Header=BB4_1557 Depth=1
	global_load_dwordx2 v[11:12], v6, s[8:9]
	s_add_i32 s20, s14, -8
	s_add_u32 s4, s8, 8
	s_addc_u32 s5, s9, 0
	s_cmp_gt_u32 s20, 7
	s_cbranch_scc0 .LBB4_1560
.LBB4_1569:                             ;   in Loop: Header=BB4_1557 Depth=1
                                        ; implicit-def: $vgpr13_vgpr14
                                        ; implicit-def: $sgpr21
.LBB4_1570:                             ;   in Loop: Header=BB4_1557 Depth=1
	global_load_dwordx2 v[13:14], v6, s[4:5]
	s_add_i32 s21, s20, -8
	s_add_u32 s4, s4, 8
	s_addc_u32 s5, s5, 0
.LBB4_1571:                             ;   in Loop: Header=BB4_1557 Depth=1
	s_cmp_gt_u32 s21, 7
	s_cbranch_scc1 .LBB4_1576
; %bb.1572:                             ;   in Loop: Header=BB4_1557 Depth=1
	v_mov_b32_e32 v15, 0
	v_mov_b32_e32 v16, 0
	s_cmp_eq_u32 s21, 0
	s_cbranch_scc1 .LBB4_1575
; %bb.1573:                             ;   in Loop: Header=BB4_1557 Depth=1
	s_mov_b64 s[16:17], 0
	s_mov_b64 s[18:19], 0
.LBB4_1574:                             ;   Parent Loop BB4_1557 Depth=1
                                        ; =>  This Inner Loop Header: Depth=2
	s_add_u32 s22, s4, s18
	s_addc_u32 s23, s5, s19
	s_add_u32 s18, s18, 1
	global_load_ubyte v4, v6, s[22:23]
	s_addc_u32 s19, s19, 0
	s_waitcnt vmcnt(0)
	v_and_b32_e32 v5, 0xffff, v4
	v_lshlrev_b64 v[4:5], s16, v[5:6]
	s_add_u32 s16, s16, 8
	s_addc_u32 s17, s17, 0
	s_cmp_lg_u32 s21, s18
	v_or_b32_e32 v15, v4, v15
	v_or_b32_e32 v16, v5, v16
	s_cbranch_scc1 .LBB4_1574
.LBB4_1575:                             ;   in Loop: Header=BB4_1557 Depth=1
	s_mov_b32 s20, 0
	s_cbranch_execz .LBB4_1577
	s_branch .LBB4_1578
.LBB4_1576:                             ;   in Loop: Header=BB4_1557 Depth=1
                                        ; implicit-def: $sgpr20
.LBB4_1577:                             ;   in Loop: Header=BB4_1557 Depth=1
	global_load_dwordx2 v[15:16], v6, s[4:5]
	s_add_i32 s20, s21, -8
	s_add_u32 s4, s4, 8
	s_addc_u32 s5, s5, 0
.LBB4_1578:                             ;   in Loop: Header=BB4_1557 Depth=1
	s_cmp_gt_u32 s20, 7
	s_cbranch_scc1 .LBB4_1583
; %bb.1579:                             ;   in Loop: Header=BB4_1557 Depth=1
	v_mov_b32_e32 v17, 0
	v_mov_b32_e32 v18, 0
	s_cmp_eq_u32 s20, 0
	s_cbranch_scc1 .LBB4_1582
; %bb.1580:                             ;   in Loop: Header=BB4_1557 Depth=1
	s_mov_b64 s[16:17], 0
	s_mov_b64 s[18:19], 0
.LBB4_1581:                             ;   Parent Loop BB4_1557 Depth=1
                                        ; =>  This Inner Loop Header: Depth=2
	s_add_u32 s22, s4, s18
	s_addc_u32 s23, s5, s19
	s_add_u32 s18, s18, 1
	global_load_ubyte v4, v6, s[22:23]
	s_addc_u32 s19, s19, 0
	s_waitcnt vmcnt(0)
	v_and_b32_e32 v5, 0xffff, v4
	v_lshlrev_b64 v[4:5], s16, v[5:6]
	s_add_u32 s16, s16, 8
	s_addc_u32 s17, s17, 0
	s_cmp_lg_u32 s20, s18
	v_or_b32_e32 v17, v4, v17
	v_or_b32_e32 v18, v5, v18
	s_cbranch_scc1 .LBB4_1581
.LBB4_1582:                             ;   in Loop: Header=BB4_1557 Depth=1
	s_mov_b32 s21, 0
	s_cbranch_execz .LBB4_1584
	s_branch .LBB4_1585
.LBB4_1583:                             ;   in Loop: Header=BB4_1557 Depth=1
                                        ; implicit-def: $vgpr17_vgpr18
                                        ; implicit-def: $sgpr21
.LBB4_1584:                             ;   in Loop: Header=BB4_1557 Depth=1
	global_load_dwordx2 v[17:18], v6, s[4:5]
	s_add_i32 s21, s20, -8
	s_add_u32 s4, s4, 8
	s_addc_u32 s5, s5, 0
.LBB4_1585:                             ;   in Loop: Header=BB4_1557 Depth=1
	s_cmp_gt_u32 s21, 7
	s_cbranch_scc1 .LBB4_1590
; %bb.1586:                             ;   in Loop: Header=BB4_1557 Depth=1
	v_mov_b32_e32 v19, 0
	v_mov_b32_e32 v20, 0
	s_cmp_eq_u32 s21, 0
	s_cbranch_scc1 .LBB4_1589
; %bb.1587:                             ;   in Loop: Header=BB4_1557 Depth=1
	s_mov_b64 s[16:17], 0
	s_mov_b64 s[18:19], 0
.LBB4_1588:                             ;   Parent Loop BB4_1557 Depth=1
                                        ; =>  This Inner Loop Header: Depth=2
	s_add_u32 s22, s4, s18
	s_addc_u32 s23, s5, s19
	s_add_u32 s18, s18, 1
	global_load_ubyte v4, v6, s[22:23]
	s_addc_u32 s19, s19, 0
	s_waitcnt vmcnt(0)
	v_and_b32_e32 v5, 0xffff, v4
	v_lshlrev_b64 v[4:5], s16, v[5:6]
	s_add_u32 s16, s16, 8
	s_addc_u32 s17, s17, 0
	s_cmp_lg_u32 s21, s18
	v_or_b32_e32 v19, v4, v19
	v_or_b32_e32 v20, v5, v20
	s_cbranch_scc1 .LBB4_1588
.LBB4_1589:                             ;   in Loop: Header=BB4_1557 Depth=1
	s_mov_b32 s20, 0
	s_cbranch_execz .LBB4_1591
	s_branch .LBB4_1592
.LBB4_1590:                             ;   in Loop: Header=BB4_1557 Depth=1
                                        ; implicit-def: $sgpr20
.LBB4_1591:                             ;   in Loop: Header=BB4_1557 Depth=1
	global_load_dwordx2 v[19:20], v6, s[4:5]
	s_add_i32 s20, s21, -8
	s_add_u32 s4, s4, 8
	s_addc_u32 s5, s5, 0
.LBB4_1592:                             ;   in Loop: Header=BB4_1557 Depth=1
	s_cmp_gt_u32 s20, 7
	s_cbranch_scc1 .LBB4_1597
; %bb.1593:                             ;   in Loop: Header=BB4_1557 Depth=1
	v_mov_b32_e32 v21, 0
	v_mov_b32_e32 v22, 0
	s_cmp_eq_u32 s20, 0
	s_cbranch_scc1 .LBB4_1596
; %bb.1594:                             ;   in Loop: Header=BB4_1557 Depth=1
	s_mov_b64 s[16:17], 0
	s_mov_b64 s[18:19], 0
.LBB4_1595:                             ;   Parent Loop BB4_1557 Depth=1
                                        ; =>  This Inner Loop Header: Depth=2
	s_add_u32 s22, s4, s18
	s_addc_u32 s23, s5, s19
	s_add_u32 s18, s18, 1
	global_load_ubyte v4, v6, s[22:23]
	s_addc_u32 s19, s19, 0
	s_waitcnt vmcnt(0)
	v_and_b32_e32 v5, 0xffff, v4
	v_lshlrev_b64 v[4:5], s16, v[5:6]
	s_add_u32 s16, s16, 8
	s_addc_u32 s17, s17, 0
	s_cmp_lg_u32 s20, s18
	v_or_b32_e32 v21, v4, v21
	v_or_b32_e32 v22, v5, v22
	s_cbranch_scc1 .LBB4_1595
.LBB4_1596:                             ;   in Loop: Header=BB4_1557 Depth=1
	s_mov_b32 s21, 0
	s_cbranch_execz .LBB4_1598
	s_branch .LBB4_1599
.LBB4_1597:                             ;   in Loop: Header=BB4_1557 Depth=1
                                        ; implicit-def: $vgpr21_vgpr22
                                        ; implicit-def: $sgpr21
.LBB4_1598:                             ;   in Loop: Header=BB4_1557 Depth=1
	global_load_dwordx2 v[21:22], v6, s[4:5]
	s_add_i32 s21, s20, -8
	s_add_u32 s4, s4, 8
	s_addc_u32 s5, s5, 0
.LBB4_1599:                             ;   in Loop: Header=BB4_1557 Depth=1
	s_cmp_gt_u32 s21, 7
	s_cbranch_scc1 .LBB4_1604
; %bb.1600:                             ;   in Loop: Header=BB4_1557 Depth=1
	v_mov_b32_e32 v23, 0
	v_mov_b32_e32 v24, 0
	s_cmp_eq_u32 s21, 0
	s_cbranch_scc1 .LBB4_1603
; %bb.1601:                             ;   in Loop: Header=BB4_1557 Depth=1
	s_mov_b64 s[16:17], 0
	s_mov_b64 s[18:19], s[4:5]
.LBB4_1602:                             ;   Parent Loop BB4_1557 Depth=1
                                        ; =>  This Inner Loop Header: Depth=2
	global_load_ubyte v4, v6, s[18:19]
	s_add_i32 s21, s21, -1
	s_waitcnt vmcnt(0)
	v_and_b32_e32 v5, 0xffff, v4
	v_lshlrev_b64 v[4:5], s16, v[5:6]
	s_add_u32 s16, s16, 8
	s_addc_u32 s17, s17, 0
	s_add_u32 s18, s18, 1
	s_addc_u32 s19, s19, 0
	s_cmp_lg_u32 s21, 0
	v_or_b32_e32 v23, v4, v23
	v_or_b32_e32 v24, v5, v24
	s_cbranch_scc1 .LBB4_1602
.LBB4_1603:                             ;   in Loop: Header=BB4_1557 Depth=1
	s_cbranch_execz .LBB4_1605
	s_branch .LBB4_1606
.LBB4_1604:                             ;   in Loop: Header=BB4_1557 Depth=1
.LBB4_1605:                             ;   in Loop: Header=BB4_1557 Depth=1
	global_load_dwordx2 v[23:24], v6, s[4:5]
.LBB4_1606:                             ;   in Loop: Header=BB4_1557 Depth=1
	v_readfirstlane_b32 s4, v37
	s_waitcnt vmcnt(0)
	v_mov_b32_e32 v4, 0
	v_mov_b32_e32 v5, 0
	v_cmp_eq_u32_e64 s4, s4, v37
	s_and_saveexec_b32 s5, s4
	s_cbranch_execz .LBB4_1612
; %bb.1607:                             ;   in Loop: Header=BB4_1557 Depth=1
	global_load_dwordx2 v[27:28], v6, s[26:27] offset:24 glc dlc
	s_waitcnt vmcnt(0)
	buffer_gl1_inv
	buffer_gl0_inv
	s_clause 0x1
	global_load_dwordx2 v[4:5], v6, s[26:27] offset:40
	global_load_dwordx2 v[9:10], v6, s[26:27]
	s_mov_b32 s16, exec_lo
	s_waitcnt vmcnt(1)
	v_and_b32_e32 v5, v5, v28
	v_and_b32_e32 v4, v4, v27
	v_mul_lo_u32 v5, v5, 24
	v_mul_hi_u32 v25, v4, 24
	v_mul_lo_u32 v4, v4, 24
	v_add_nc_u32_e32 v5, v25, v5
	s_waitcnt vmcnt(0)
	v_add_co_u32 v4, vcc_lo, v9, v4
	v_add_co_ci_u32_e32 v5, vcc_lo, v10, v5, vcc_lo
	global_load_dwordx2 v[25:26], v[4:5], off glc dlc
	s_waitcnt vmcnt(0)
	global_atomic_cmpswap_x2 v[4:5], v6, v[25:28], s[26:27] offset:24 glc
	s_waitcnt vmcnt(0)
	buffer_gl1_inv
	buffer_gl0_inv
	v_cmpx_ne_u64_e64 v[4:5], v[27:28]
	s_cbranch_execz .LBB4_1611
; %bb.1608:                             ;   in Loop: Header=BB4_1557 Depth=1
	s_mov_b32 s17, 0
	.p2align	6
.LBB4_1609:                             ;   Parent Loop BB4_1557 Depth=1
                                        ; =>  This Inner Loop Header: Depth=2
	s_sleep 1
	s_clause 0x1
	global_load_dwordx2 v[9:10], v6, s[26:27] offset:40
	global_load_dwordx2 v[25:26], v6, s[26:27]
	v_mov_b32_e32 v28, v5
	v_mov_b32_e32 v27, v4
	s_waitcnt vmcnt(1)
	v_and_b32_e32 v4, v9, v27
	v_and_b32_e32 v9, v10, v28
	s_waitcnt vmcnt(0)
	v_mad_u64_u32 v[4:5], null, v4, 24, v[25:26]
	v_mad_u64_u32 v[9:10], null, v9, 24, v[5:6]
	v_mov_b32_e32 v5, v9
	global_load_dwordx2 v[25:26], v[4:5], off glc dlc
	s_waitcnt vmcnt(0)
	global_atomic_cmpswap_x2 v[4:5], v6, v[25:28], s[26:27] offset:24 glc
	s_waitcnt vmcnt(0)
	buffer_gl1_inv
	buffer_gl0_inv
	v_cmp_eq_u64_e32 vcc_lo, v[4:5], v[27:28]
	s_or_b32 s17, vcc_lo, s17
	s_andn2_b32 exec_lo, exec_lo, s17
	s_cbranch_execnz .LBB4_1609
; %bb.1610:                             ;   in Loop: Header=BB4_1557 Depth=1
	s_or_b32 exec_lo, exec_lo, s17
.LBB4_1611:                             ;   in Loop: Header=BB4_1557 Depth=1
	s_or_b32 exec_lo, exec_lo, s16
.LBB4_1612:                             ;   in Loop: Header=BB4_1557 Depth=1
	s_or_b32 exec_lo, exec_lo, s5
	s_clause 0x1
	global_load_dwordx2 v[9:10], v6, s[26:27] offset:40
	global_load_dwordx4 v[25:28], v6, s[26:27]
	v_readfirstlane_b32 s16, v4
	v_readfirstlane_b32 s17, v5
	s_mov_b32 s5, exec_lo
	s_waitcnt vmcnt(1)
	v_readfirstlane_b32 s18, v9
	v_readfirstlane_b32 s19, v10
	s_and_b64 s[18:19], s[16:17], s[18:19]
	s_mul_i32 s20, s19, 24
	s_mul_hi_u32 s21, s18, 24
	s_mul_i32 s22, s18, 24
	s_add_i32 s21, s21, s20
	s_waitcnt vmcnt(0)
	v_add_co_u32 v29, vcc_lo, v25, s22
	v_add_co_ci_u32_e32 v30, vcc_lo, s21, v26, vcc_lo
	s_and_saveexec_b32 s20, s4
	s_cbranch_execz .LBB4_1614
; %bb.1613:                             ;   in Loop: Header=BB4_1557 Depth=1
	v_mov_b32_e32 v5, s5
	global_store_dwordx4 v[29:30], v[5:8], off offset:8
.LBB4_1614:                             ;   in Loop: Header=BB4_1557 Depth=1
	s_or_b32 exec_lo, exec_lo, s20
	s_lshl_b64 s[18:19], s[18:19], 12
	v_cmp_gt_u64_e64 vcc_lo, s[12:13], 56
	v_or_b32_e32 v5, v2, v31
	v_add_co_u32 v27, s5, v27, s18
	v_add_co_ci_u32_e64 v28, s5, s19, v28, s5
	s_lshl_b32 s5, s14, 2
	v_or_b32_e32 v4, 0, v3
	v_cndmask_b32_e32 v2, v5, v2, vcc_lo
	s_add_i32 s5, s5, 28
	v_readfirstlane_b32 s18, v27
	s_and_b32 s5, s5, 0x1e0
	v_cndmask_b32_e32 v10, v4, v3, vcc_lo
	v_readfirstlane_b32 s19, v28
	v_and_or_b32 v9, 0xffffff1f, v2, s5
	global_store_dwordx4 v36, v[9:12], s[18:19]
	global_store_dwordx4 v36, v[13:16], s[18:19] offset:16
	global_store_dwordx4 v36, v[17:20], s[18:19] offset:32
	;; [unrolled: 1-line block ×3, first 2 shown]
	s_and_saveexec_b32 s5, s4
	s_cbranch_execz .LBB4_1622
; %bb.1615:                             ;   in Loop: Header=BB4_1557 Depth=1
	s_clause 0x1
	global_load_dwordx2 v[13:14], v6, s[26:27] offset:32 glc dlc
	global_load_dwordx2 v[2:3], v6, s[26:27] offset:40
	v_mov_b32_e32 v11, s16
	v_mov_b32_e32 v12, s17
	s_waitcnt vmcnt(0)
	v_readfirstlane_b32 s18, v2
	v_readfirstlane_b32 s19, v3
	s_and_b64 s[18:19], s[18:19], s[16:17]
	s_mul_i32 s19, s19, 24
	s_mul_hi_u32 s20, s18, 24
	s_mul_i32 s18, s18, 24
	s_add_i32 s20, s20, s19
	v_add_co_u32 v9, vcc_lo, v25, s18
	v_add_co_ci_u32_e32 v10, vcc_lo, s20, v26, vcc_lo
	s_mov_b32 s18, exec_lo
	global_store_dwordx2 v[9:10], v[13:14], off
	s_waitcnt_vscnt null, 0x0
	global_atomic_cmpswap_x2 v[4:5], v6, v[11:14], s[26:27] offset:32 glc
	s_waitcnt vmcnt(0)
	v_cmpx_ne_u64_e64 v[4:5], v[13:14]
	s_cbranch_execz .LBB4_1618
; %bb.1616:                             ;   in Loop: Header=BB4_1557 Depth=1
	s_mov_b32 s19, 0
.LBB4_1617:                             ;   Parent Loop BB4_1557 Depth=1
                                        ; =>  This Inner Loop Header: Depth=2
	v_mov_b32_e32 v2, s16
	v_mov_b32_e32 v3, s17
	s_sleep 1
	global_store_dwordx2 v[9:10], v[4:5], off
	s_waitcnt_vscnt null, 0x0
	global_atomic_cmpswap_x2 v[2:3], v6, v[2:5], s[26:27] offset:32 glc
	s_waitcnt vmcnt(0)
	v_cmp_eq_u64_e32 vcc_lo, v[2:3], v[4:5]
	v_mov_b32_e32 v5, v3
	v_mov_b32_e32 v4, v2
	s_or_b32 s19, vcc_lo, s19
	s_andn2_b32 exec_lo, exec_lo, s19
	s_cbranch_execnz .LBB4_1617
.LBB4_1618:                             ;   in Loop: Header=BB4_1557 Depth=1
	s_or_b32 exec_lo, exec_lo, s18
	global_load_dwordx2 v[2:3], v6, s[26:27] offset:16
	s_mov_b32 s19, exec_lo
	s_mov_b32 s18, exec_lo
	v_mbcnt_lo_u32_b32 v4, s19, 0
	v_cmpx_eq_u32_e32 0, v4
	s_cbranch_execz .LBB4_1620
; %bb.1619:                             ;   in Loop: Header=BB4_1557 Depth=1
	s_bcnt1_i32_b32 s19, s19
	v_mov_b32_e32 v5, s19
	s_waitcnt vmcnt(0)
	global_atomic_add_x2 v[2:3], v[5:6], off offset:8
.LBB4_1620:                             ;   in Loop: Header=BB4_1557 Depth=1
	s_or_b32 exec_lo, exec_lo, s18
	s_waitcnt vmcnt(0)
	global_load_dwordx2 v[9:10], v[2:3], off offset:16
	s_waitcnt vmcnt(0)
	v_cmp_eq_u64_e32 vcc_lo, 0, v[9:10]
	s_cbranch_vccnz .LBB4_1622
; %bb.1621:                             ;   in Loop: Header=BB4_1557 Depth=1
	global_load_dword v5, v[2:3], off offset:24
	s_waitcnt vmcnt(0)
	v_and_b32_e32 v2, 0x7fffff, v5
	s_waitcnt_vscnt null, 0x0
	global_store_dwordx2 v[9:10], v[5:6], off
	v_readfirstlane_b32 m0, v2
	s_sendmsg sendmsg(MSG_INTERRUPT)
.LBB4_1622:                             ;   in Loop: Header=BB4_1557 Depth=1
	s_or_b32 exec_lo, exec_lo, s5
	v_add_co_u32 v2, vcc_lo, v27, v36
	v_add_co_ci_u32_e32 v3, vcc_lo, 0, v28, vcc_lo
	s_branch .LBB4_1626
	.p2align	6
.LBB4_1623:                             ;   in Loop: Header=BB4_1626 Depth=2
	s_or_b32 exec_lo, exec_lo, s5
	v_readfirstlane_b32 s5, v4
	s_cmp_eq_u32 s5, 0
	s_cbranch_scc1 .LBB4_1625
; %bb.1624:                             ;   in Loop: Header=BB4_1626 Depth=2
	s_sleep 1
	s_cbranch_execnz .LBB4_1626
	s_branch .LBB4_1628
	.p2align	6
.LBB4_1625:                             ;   in Loop: Header=BB4_1557 Depth=1
	s_branch .LBB4_1628
.LBB4_1626:                             ;   Parent Loop BB4_1557 Depth=1
                                        ; =>  This Inner Loop Header: Depth=2
	v_mov_b32_e32 v4, 1
	s_and_saveexec_b32 s5, s4
	s_cbranch_execz .LBB4_1623
; %bb.1627:                             ;   in Loop: Header=BB4_1626 Depth=2
	global_load_dword v4, v[29:30], off offset:20 glc dlc
	s_waitcnt vmcnt(0)
	buffer_gl1_inv
	buffer_gl0_inv
	v_and_b32_e32 v4, 1, v4
	s_branch .LBB4_1623
.LBB4_1628:                             ;   in Loop: Header=BB4_1557 Depth=1
	global_load_dwordx4 v[2:5], v[2:3], off
	s_and_saveexec_b32 s5, s4
	s_cbranch_execz .LBB4_1556
; %bb.1629:                             ;   in Loop: Header=BB4_1557 Depth=1
	s_clause 0x2
	global_load_dwordx2 v[4:5], v6, s[26:27] offset:40
	global_load_dwordx2 v[13:14], v6, s[26:27] offset:24 glc dlc
	global_load_dwordx2 v[11:12], v6, s[26:27]
	s_waitcnt vmcnt(2)
	v_add_co_u32 v15, vcc_lo, v4, 1
	v_add_co_ci_u32_e32 v16, vcc_lo, 0, v5, vcc_lo
	v_add_co_u32 v9, vcc_lo, v15, s16
	v_add_co_ci_u32_e32 v10, vcc_lo, s17, v16, vcc_lo
	v_cmp_eq_u64_e32 vcc_lo, 0, v[9:10]
	v_cndmask_b32_e32 v10, v10, v16, vcc_lo
	v_cndmask_b32_e32 v9, v9, v15, vcc_lo
	v_and_b32_e32 v5, v10, v5
	v_and_b32_e32 v4, v9, v4
	v_mul_lo_u32 v5, v5, 24
	v_mul_hi_u32 v15, v4, 24
	v_mul_lo_u32 v4, v4, 24
	v_add_nc_u32_e32 v5, v15, v5
	s_waitcnt vmcnt(0)
	v_add_co_u32 v4, vcc_lo, v11, v4
	v_mov_b32_e32 v11, v13
	v_add_co_ci_u32_e32 v5, vcc_lo, v12, v5, vcc_lo
	v_mov_b32_e32 v12, v14
	global_store_dwordx2 v[4:5], v[13:14], off
	s_waitcnt_vscnt null, 0x0
	global_atomic_cmpswap_x2 v[11:12], v6, v[9:12], s[26:27] offset:24 glc
	s_waitcnt vmcnt(0)
	v_cmp_ne_u64_e32 vcc_lo, v[11:12], v[13:14]
	s_and_b32 exec_lo, exec_lo, vcc_lo
	s_cbranch_execz .LBB4_1556
; %bb.1630:                             ;   in Loop: Header=BB4_1557 Depth=1
	s_mov_b32 s4, 0
.LBB4_1631:                             ;   Parent Loop BB4_1557 Depth=1
                                        ; =>  This Inner Loop Header: Depth=2
	s_sleep 1
	global_store_dwordx2 v[4:5], v[11:12], off
	s_waitcnt_vscnt null, 0x0
	global_atomic_cmpswap_x2 v[13:14], v6, v[9:12], s[26:27] offset:24 glc
	s_waitcnt vmcnt(0)
	v_cmp_eq_u64_e32 vcc_lo, v[13:14], v[11:12]
	v_mov_b32_e32 v11, v13
	v_mov_b32_e32 v12, v14
	s_or_b32 s4, vcc_lo, s4
	s_andn2_b32 exec_lo, exec_lo, s4
	s_cbranch_execnz .LBB4_1631
	s_branch .LBB4_1556
.LBB4_1632:
	s_branch .LBB4_1661
.LBB4_1633:
                                        ; implicit-def: $vgpr2_vgpr3
	s_cbranch_execz .LBB4_1661
; %bb.1634:
	v_readfirstlane_b32 s4, v37
	v_mov_b32_e32 v8, 0
	v_mov_b32_e32 v9, 0
	v_cmp_eq_u32_e64 s4, s4, v37
	s_and_saveexec_b32 s5, s4
	s_cbranch_execz .LBB4_1640
; %bb.1635:
	s_waitcnt vmcnt(0)
	v_mov_b32_e32 v2, 0
	s_mov_b32 s8, exec_lo
	global_load_dwordx2 v[5:6], v2, s[26:27] offset:24 glc dlc
	s_waitcnt vmcnt(0)
	buffer_gl1_inv
	buffer_gl0_inv
	s_clause 0x1
	global_load_dwordx2 v[3:4], v2, s[26:27] offset:40
	global_load_dwordx2 v[7:8], v2, s[26:27]
	s_waitcnt vmcnt(1)
	v_and_b32_e32 v4, v4, v6
	v_and_b32_e32 v3, v3, v5
	v_mul_lo_u32 v4, v4, 24
	v_mul_hi_u32 v9, v3, 24
	v_mul_lo_u32 v3, v3, 24
	v_add_nc_u32_e32 v4, v9, v4
	s_waitcnt vmcnt(0)
	v_add_co_u32 v3, vcc_lo, v7, v3
	v_add_co_ci_u32_e32 v4, vcc_lo, v8, v4, vcc_lo
	global_load_dwordx2 v[3:4], v[3:4], off glc dlc
	s_waitcnt vmcnt(0)
	global_atomic_cmpswap_x2 v[8:9], v2, v[3:6], s[26:27] offset:24 glc
	s_waitcnt vmcnt(0)
	buffer_gl1_inv
	buffer_gl0_inv
	v_cmpx_ne_u64_e64 v[8:9], v[5:6]
	s_cbranch_execz .LBB4_1639
; %bb.1636:
	s_mov_b32 s9, 0
.LBB4_1637:                             ; =>This Inner Loop Header: Depth=1
	s_sleep 1
	s_clause 0x1
	global_load_dwordx2 v[3:4], v2, s[26:27] offset:40
	global_load_dwordx2 v[10:11], v2, s[26:27]
	v_mov_b32_e32 v5, v8
	v_mov_b32_e32 v6, v9
	s_waitcnt vmcnt(1)
	v_and_b32_e32 v3, v3, v5
	v_and_b32_e32 v4, v4, v6
	s_waitcnt vmcnt(0)
	v_mad_u64_u32 v[7:8], null, v3, 24, v[10:11]
	v_mov_b32_e32 v3, v8
	v_mad_u64_u32 v[3:4], null, v4, 24, v[3:4]
	v_mov_b32_e32 v8, v3
	global_load_dwordx2 v[3:4], v[7:8], off glc dlc
	s_waitcnt vmcnt(0)
	global_atomic_cmpswap_x2 v[8:9], v2, v[3:6], s[26:27] offset:24 glc
	s_waitcnt vmcnt(0)
	buffer_gl1_inv
	buffer_gl0_inv
	v_cmp_eq_u64_e32 vcc_lo, v[8:9], v[5:6]
	s_or_b32 s9, vcc_lo, s9
	s_andn2_b32 exec_lo, exec_lo, s9
	s_cbranch_execnz .LBB4_1637
; %bb.1638:
	s_or_b32 exec_lo, exec_lo, s9
.LBB4_1639:
	s_or_b32 exec_lo, exec_lo, s8
.LBB4_1640:
	s_or_b32 exec_lo, exec_lo, s5
	s_waitcnt vmcnt(0)
	v_mov_b32_e32 v2, 0
	v_readfirstlane_b32 s8, v8
	v_readfirstlane_b32 s9, v9
	s_mov_b32 s5, exec_lo
	s_clause 0x1
	global_load_dwordx2 v[10:11], v2, s[26:27] offset:40
	global_load_dwordx4 v[4:7], v2, s[26:27]
	s_waitcnt vmcnt(1)
	v_readfirstlane_b32 s12, v10
	v_readfirstlane_b32 s13, v11
	s_and_b64 s[12:13], s[8:9], s[12:13]
	s_mul_i32 s14, s13, 24
	s_mul_hi_u32 s15, s12, 24
	s_mul_i32 s16, s12, 24
	s_add_i32 s15, s15, s14
	s_waitcnt vmcnt(0)
	v_add_co_u32 v8, vcc_lo, v4, s16
	v_add_co_ci_u32_e32 v9, vcc_lo, s15, v5, vcc_lo
	s_and_saveexec_b32 s14, s4
	s_cbranch_execz .LBB4_1642
; %bb.1641:
	v_mov_b32_e32 v10, s5
	v_mov_b32_e32 v11, v2
	;; [unrolled: 1-line block ×4, first 2 shown]
	global_store_dwordx4 v[8:9], v[10:13], off offset:8
.LBB4_1642:
	s_or_b32 exec_lo, exec_lo, s14
	s_lshl_b64 s[12:13], s[12:13], 12
	v_and_or_b32 v0, 0xffffff1f, v0, 32
	v_add_co_u32 v6, vcc_lo, v6, s12
	v_add_co_ci_u32_e32 v7, vcc_lo, s13, v7, vcc_lo
	s_mov_b32 s12, 0
	v_readfirstlane_b32 s16, v6
	v_add_co_u32 v6, vcc_lo, v6, v36
	s_mov_b32 s13, s12
	s_mov_b32 s14, s12
	;; [unrolled: 1-line block ×3, first 2 shown]
	v_mov_b32_e32 v3, v2
	v_readfirstlane_b32 s17, v7
	v_mov_b32_e32 v10, s12
	v_add_co_ci_u32_e32 v7, vcc_lo, 0, v7, vcc_lo
	v_mov_b32_e32 v11, s13
	v_mov_b32_e32 v12, s14
	v_mov_b32_e32 v13, s15
	global_store_dwordx4 v36, v[0:3], s[16:17]
	global_store_dwordx4 v36, v[10:13], s[16:17] offset:16
	global_store_dwordx4 v36, v[10:13], s[16:17] offset:32
	;; [unrolled: 1-line block ×3, first 2 shown]
	s_and_saveexec_b32 s5, s4
	s_cbranch_execz .LBB4_1650
; %bb.1643:
	v_mov_b32_e32 v10, 0
	v_mov_b32_e32 v11, s8
	;; [unrolled: 1-line block ×3, first 2 shown]
	s_clause 0x1
	global_load_dwordx2 v[13:14], v10, s[26:27] offset:32 glc dlc
	global_load_dwordx2 v[0:1], v10, s[26:27] offset:40
	s_waitcnt vmcnt(0)
	v_readfirstlane_b32 s12, v0
	v_readfirstlane_b32 s13, v1
	s_and_b64 s[12:13], s[12:13], s[8:9]
	s_mul_i32 s13, s13, 24
	s_mul_hi_u32 s14, s12, 24
	s_mul_i32 s12, s12, 24
	s_add_i32 s14, s14, s13
	v_add_co_u32 v4, vcc_lo, v4, s12
	v_add_co_ci_u32_e32 v5, vcc_lo, s14, v5, vcc_lo
	s_mov_b32 s12, exec_lo
	global_store_dwordx2 v[4:5], v[13:14], off
	s_waitcnt_vscnt null, 0x0
	global_atomic_cmpswap_x2 v[2:3], v10, v[11:14], s[26:27] offset:32 glc
	s_waitcnt vmcnt(0)
	v_cmpx_ne_u64_e64 v[2:3], v[13:14]
	s_cbranch_execz .LBB4_1646
; %bb.1644:
	s_mov_b32 s13, 0
.LBB4_1645:                             ; =>This Inner Loop Header: Depth=1
	v_mov_b32_e32 v0, s8
	v_mov_b32_e32 v1, s9
	s_sleep 1
	global_store_dwordx2 v[4:5], v[2:3], off
	s_waitcnt_vscnt null, 0x0
	global_atomic_cmpswap_x2 v[0:1], v10, v[0:3], s[26:27] offset:32 glc
	s_waitcnt vmcnt(0)
	v_cmp_eq_u64_e32 vcc_lo, v[0:1], v[2:3]
	v_mov_b32_e32 v3, v1
	v_mov_b32_e32 v2, v0
	s_or_b32 s13, vcc_lo, s13
	s_andn2_b32 exec_lo, exec_lo, s13
	s_cbranch_execnz .LBB4_1645
.LBB4_1646:
	s_or_b32 exec_lo, exec_lo, s12
	v_mov_b32_e32 v3, 0
	s_mov_b32 s13, exec_lo
	s_mov_b32 s12, exec_lo
	v_mbcnt_lo_u32_b32 v2, s13, 0
	global_load_dwordx2 v[0:1], v3, s[26:27] offset:16
	v_cmpx_eq_u32_e32 0, v2
	s_cbranch_execz .LBB4_1648
; %bb.1647:
	s_bcnt1_i32_b32 s13, s13
	v_mov_b32_e32 v2, s13
	s_waitcnt vmcnt(0)
	global_atomic_add_x2 v[0:1], v[2:3], off offset:8
.LBB4_1648:
	s_or_b32 exec_lo, exec_lo, s12
	s_waitcnt vmcnt(0)
	global_load_dwordx2 v[2:3], v[0:1], off offset:16
	s_waitcnt vmcnt(0)
	v_cmp_eq_u64_e32 vcc_lo, 0, v[2:3]
	s_cbranch_vccnz .LBB4_1650
; %bb.1649:
	global_load_dword v0, v[0:1], off offset:24
	v_mov_b32_e32 v1, 0
	s_waitcnt vmcnt(0)
	v_and_b32_e32 v4, 0x7fffff, v0
	s_waitcnt_vscnt null, 0x0
	global_store_dwordx2 v[2:3], v[0:1], off
	v_readfirstlane_b32 m0, v4
	s_sendmsg sendmsg(MSG_INTERRUPT)
.LBB4_1650:
	s_or_b32 exec_lo, exec_lo, s5
	s_branch .LBB4_1654
	.p2align	6
.LBB4_1651:                             ;   in Loop: Header=BB4_1654 Depth=1
	s_or_b32 exec_lo, exec_lo, s5
	v_readfirstlane_b32 s5, v0
	s_cmp_eq_u32 s5, 0
	s_cbranch_scc1 .LBB4_1653
; %bb.1652:                             ;   in Loop: Header=BB4_1654 Depth=1
	s_sleep 1
	s_cbranch_execnz .LBB4_1654
	s_branch .LBB4_1656
	.p2align	6
.LBB4_1653:
	s_branch .LBB4_1656
.LBB4_1654:                             ; =>This Inner Loop Header: Depth=1
	v_mov_b32_e32 v0, 1
	s_and_saveexec_b32 s5, s4
	s_cbranch_execz .LBB4_1651
; %bb.1655:                             ;   in Loop: Header=BB4_1654 Depth=1
	global_load_dword v0, v[8:9], off offset:20 glc dlc
	s_waitcnt vmcnt(0)
	buffer_gl1_inv
	buffer_gl0_inv
	v_and_b32_e32 v0, 1, v0
	s_branch .LBB4_1651
.LBB4_1656:
	global_load_dwordx2 v[2:3], v[6:7], off
	s_and_saveexec_b32 s5, s4
	s_cbranch_execz .LBB4_1660
; %bb.1657:
	v_mov_b32_e32 v8, 0
	s_clause 0x2
	global_load_dwordx2 v[0:1], v8, s[26:27] offset:40
	global_load_dwordx2 v[9:10], v8, s[26:27] offset:24 glc dlc
	global_load_dwordx2 v[6:7], v8, s[26:27]
	s_waitcnt vmcnt(2)
	v_add_co_u32 v11, vcc_lo, v0, 1
	v_add_co_ci_u32_e32 v12, vcc_lo, 0, v1, vcc_lo
	v_add_co_u32 v4, vcc_lo, v11, s8
	v_add_co_ci_u32_e32 v5, vcc_lo, s9, v12, vcc_lo
	v_cmp_eq_u64_e32 vcc_lo, 0, v[4:5]
	v_cndmask_b32_e32 v5, v5, v12, vcc_lo
	v_cndmask_b32_e32 v4, v4, v11, vcc_lo
	v_and_b32_e32 v1, v5, v1
	v_and_b32_e32 v0, v4, v0
	v_mul_lo_u32 v1, v1, 24
	v_mul_hi_u32 v11, v0, 24
	v_mul_lo_u32 v0, v0, 24
	v_add_nc_u32_e32 v1, v11, v1
	s_waitcnt vmcnt(0)
	v_add_co_u32 v0, vcc_lo, v6, v0
	v_mov_b32_e32 v6, v9
	v_add_co_ci_u32_e32 v1, vcc_lo, v7, v1, vcc_lo
	v_mov_b32_e32 v7, v10
	global_store_dwordx2 v[0:1], v[9:10], off
	s_waitcnt_vscnt null, 0x0
	global_atomic_cmpswap_x2 v[6:7], v8, v[4:7], s[26:27] offset:24 glc
	s_waitcnt vmcnt(0)
	v_cmp_ne_u64_e32 vcc_lo, v[6:7], v[9:10]
	s_and_b32 exec_lo, exec_lo, vcc_lo
	s_cbranch_execz .LBB4_1660
; %bb.1658:
	s_mov_b32 s4, 0
.LBB4_1659:                             ; =>This Inner Loop Header: Depth=1
	s_sleep 1
	global_store_dwordx2 v[0:1], v[6:7], off
	s_waitcnt_vscnt null, 0x0
	global_atomic_cmpswap_x2 v[9:10], v8, v[4:7], s[26:27] offset:24 glc
	s_waitcnt vmcnt(0)
	v_cmp_eq_u64_e32 vcc_lo, v[9:10], v[6:7]
	v_mov_b32_e32 v6, v9
	v_mov_b32_e32 v7, v10
	s_or_b32 s4, vcc_lo, s4
	s_andn2_b32 exec_lo, exec_lo, s4
	s_cbranch_execnz .LBB4_1659
.LBB4_1660:
	s_or_b32 exec_lo, exec_lo, s5
.LBB4_1661:
	v_readfirstlane_b32 s4, v37
	s_waitcnt vmcnt(0)
	v_mov_b32_e32 v0, 0
	v_mov_b32_e32 v1, 0
	v_cmp_eq_u32_e64 s4, s4, v37
	s_and_saveexec_b32 s5, s4
	s_cbranch_execz .LBB4_1667
; %bb.1662:
	v_mov_b32_e32 v4, 0
	s_mov_b32 s8, exec_lo
	global_load_dwordx2 v[7:8], v4, s[26:27] offset:24 glc dlc
	s_waitcnt vmcnt(0)
	buffer_gl1_inv
	buffer_gl0_inv
	s_clause 0x1
	global_load_dwordx2 v[0:1], v4, s[26:27] offset:40
	global_load_dwordx2 v[5:6], v4, s[26:27]
	s_waitcnt vmcnt(1)
	v_and_b32_e32 v1, v1, v8
	v_and_b32_e32 v0, v0, v7
	v_mul_lo_u32 v1, v1, 24
	v_mul_hi_u32 v9, v0, 24
	v_mul_lo_u32 v0, v0, 24
	v_add_nc_u32_e32 v1, v9, v1
	s_waitcnt vmcnt(0)
	v_add_co_u32 v0, vcc_lo, v5, v0
	v_add_co_ci_u32_e32 v1, vcc_lo, v6, v1, vcc_lo
	global_load_dwordx2 v[5:6], v[0:1], off glc dlc
	s_waitcnt vmcnt(0)
	global_atomic_cmpswap_x2 v[0:1], v4, v[5:8], s[26:27] offset:24 glc
	s_waitcnt vmcnt(0)
	buffer_gl1_inv
	buffer_gl0_inv
	v_cmpx_ne_u64_e64 v[0:1], v[7:8]
	s_cbranch_execz .LBB4_1666
; %bb.1663:
	s_mov_b32 s9, 0
	.p2align	6
.LBB4_1664:                             ; =>This Inner Loop Header: Depth=1
	s_sleep 1
	s_clause 0x1
	global_load_dwordx2 v[5:6], v4, s[26:27] offset:40
	global_load_dwordx2 v[9:10], v4, s[26:27]
	v_mov_b32_e32 v8, v1
	v_mov_b32_e32 v7, v0
	s_waitcnt vmcnt(1)
	v_and_b32_e32 v0, v5, v7
	v_and_b32_e32 v5, v6, v8
	s_waitcnt vmcnt(0)
	v_mad_u64_u32 v[0:1], null, v0, 24, v[9:10]
	v_mad_u64_u32 v[5:6], null, v5, 24, v[1:2]
	v_mov_b32_e32 v1, v5
	global_load_dwordx2 v[5:6], v[0:1], off glc dlc
	s_waitcnt vmcnt(0)
	global_atomic_cmpswap_x2 v[0:1], v4, v[5:8], s[26:27] offset:24 glc
	s_waitcnt vmcnt(0)
	buffer_gl1_inv
	buffer_gl0_inv
	v_cmp_eq_u64_e32 vcc_lo, v[0:1], v[7:8]
	s_or_b32 s9, vcc_lo, s9
	s_andn2_b32 exec_lo, exec_lo, s9
	s_cbranch_execnz .LBB4_1664
; %bb.1665:
	s_or_b32 exec_lo, exec_lo, s9
.LBB4_1666:
	s_or_b32 exec_lo, exec_lo, s8
.LBB4_1667:
	s_or_b32 exec_lo, exec_lo, s5
	v_mov_b32_e32 v5, 0
	v_readfirstlane_b32 s8, v0
	v_readfirstlane_b32 s9, v1
	s_mov_b32 s5, exec_lo
	s_clause 0x1
	global_load_dwordx2 v[10:11], v5, s[26:27] offset:40
	global_load_dwordx4 v[6:9], v5, s[26:27]
	s_waitcnt vmcnt(1)
	v_readfirstlane_b32 s12, v10
	v_readfirstlane_b32 s13, v11
	s_and_b64 s[12:13], s[8:9], s[12:13]
	s_mul_i32 s14, s13, 24
	s_mul_hi_u32 s15, s12, 24
	s_mul_i32 s16, s12, 24
	s_add_i32 s15, s15, s14
	s_waitcnt vmcnt(0)
	v_add_co_u32 v10, vcc_lo, v6, s16
	v_add_co_ci_u32_e32 v11, vcc_lo, s15, v7, vcc_lo
	s_and_saveexec_b32 s14, s4
	s_cbranch_execz .LBB4_1669
; %bb.1668:
	v_mov_b32_e32 v4, s5
	v_mov_b32_e32 v13, v5
	;; [unrolled: 1-line block ×5, first 2 shown]
	global_store_dwordx4 v[10:11], v[12:15], off offset:8
.LBB4_1669:
	s_or_b32 exec_lo, exec_lo, s14
	s_lshl_b64 s[12:13], s[12:13], 12
	v_and_or_b32 v2, 0xffffff1d, v2, 34
	v_add_co_u32 v0, vcc_lo, v8, s12
	v_add_co_ci_u32_e32 v1, vcc_lo, s13, v9, vcc_lo
	s_mov_b32 s12, 0
	v_mov_b32_e32 v4, 10
	s_mov_b32 s13, s12
	s_mov_b32 s14, s12
	;; [unrolled: 1-line block ×3, first 2 shown]
	v_readfirstlane_b32 s16, v0
	v_readfirstlane_b32 s17, v1
	v_mov_b32_e32 v12, s12
	v_mov_b32_e32 v13, s13
	;; [unrolled: 1-line block ×4, first 2 shown]
	global_store_dwordx4 v36, v[2:5], s[16:17]
	global_store_dwordx4 v36, v[12:15], s[16:17] offset:16
	global_store_dwordx4 v36, v[12:15], s[16:17] offset:32
	;; [unrolled: 1-line block ×3, first 2 shown]
	s_and_saveexec_b32 s5, s4
	s_cbranch_execz .LBB4_1677
; %bb.1670:
	v_mov_b32_e32 v8, 0
	v_mov_b32_e32 v12, s8
	;; [unrolled: 1-line block ×3, first 2 shown]
	s_clause 0x1
	global_load_dwordx2 v[14:15], v8, s[26:27] offset:32 glc dlc
	global_load_dwordx2 v[0:1], v8, s[26:27] offset:40
	s_waitcnt vmcnt(0)
	v_readfirstlane_b32 s12, v0
	v_readfirstlane_b32 s13, v1
	s_and_b64 s[12:13], s[12:13], s[8:9]
	s_mul_i32 s13, s13, 24
	s_mul_hi_u32 s14, s12, 24
	s_mul_i32 s12, s12, 24
	s_add_i32 s14, s14, s13
	v_add_co_u32 v4, vcc_lo, v6, s12
	v_add_co_ci_u32_e32 v5, vcc_lo, s14, v7, vcc_lo
	s_mov_b32 s12, exec_lo
	global_store_dwordx2 v[4:5], v[14:15], off
	s_waitcnt_vscnt null, 0x0
	global_atomic_cmpswap_x2 v[2:3], v8, v[12:15], s[26:27] offset:32 glc
	s_waitcnt vmcnt(0)
	v_cmpx_ne_u64_e64 v[2:3], v[14:15]
	s_cbranch_execz .LBB4_1673
; %bb.1671:
	s_mov_b32 s13, 0
.LBB4_1672:                             ; =>This Inner Loop Header: Depth=1
	v_mov_b32_e32 v0, s8
	v_mov_b32_e32 v1, s9
	s_sleep 1
	global_store_dwordx2 v[4:5], v[2:3], off
	s_waitcnt_vscnt null, 0x0
	global_atomic_cmpswap_x2 v[0:1], v8, v[0:3], s[26:27] offset:32 glc
	s_waitcnt vmcnt(0)
	v_cmp_eq_u64_e32 vcc_lo, v[0:1], v[2:3]
	v_mov_b32_e32 v3, v1
	v_mov_b32_e32 v2, v0
	s_or_b32 s13, vcc_lo, s13
	s_andn2_b32 exec_lo, exec_lo, s13
	s_cbranch_execnz .LBB4_1672
.LBB4_1673:
	s_or_b32 exec_lo, exec_lo, s12
	v_mov_b32_e32 v3, 0
	s_mov_b32 s13, exec_lo
	s_mov_b32 s12, exec_lo
	v_mbcnt_lo_u32_b32 v2, s13, 0
	global_load_dwordx2 v[0:1], v3, s[26:27] offset:16
	v_cmpx_eq_u32_e32 0, v2
	s_cbranch_execz .LBB4_1675
; %bb.1674:
	s_bcnt1_i32_b32 s13, s13
	v_mov_b32_e32 v2, s13
	s_waitcnt vmcnt(0)
	global_atomic_add_x2 v[0:1], v[2:3], off offset:8
.LBB4_1675:
	s_or_b32 exec_lo, exec_lo, s12
	s_waitcnt vmcnt(0)
	global_load_dwordx2 v[2:3], v[0:1], off offset:16
	s_waitcnt vmcnt(0)
	v_cmp_eq_u64_e32 vcc_lo, 0, v[2:3]
	s_cbranch_vccnz .LBB4_1677
; %bb.1676:
	global_load_dword v0, v[0:1], off offset:24
	v_mov_b32_e32 v1, 0
	s_waitcnt vmcnt(0)
	v_and_b32_e32 v4, 0x7fffff, v0
	s_waitcnt_vscnt null, 0x0
	global_store_dwordx2 v[2:3], v[0:1], off
	v_readfirstlane_b32 m0, v4
	s_sendmsg sendmsg(MSG_INTERRUPT)
.LBB4_1677:
	s_or_b32 exec_lo, exec_lo, s5
	s_branch .LBB4_1681
	.p2align	6
.LBB4_1678:                             ;   in Loop: Header=BB4_1681 Depth=1
	s_or_b32 exec_lo, exec_lo, s5
	v_readfirstlane_b32 s5, v0
	s_cmp_eq_u32 s5, 0
	s_cbranch_scc1 .LBB4_1680
; %bb.1679:                             ;   in Loop: Header=BB4_1681 Depth=1
	s_sleep 1
	s_cbranch_execnz .LBB4_1681
	s_branch .LBB4_1683
	.p2align	6
.LBB4_1680:
	s_branch .LBB4_1683
.LBB4_1681:                             ; =>This Inner Loop Header: Depth=1
	v_mov_b32_e32 v0, 1
	s_and_saveexec_b32 s5, s4
	s_cbranch_execz .LBB4_1678
; %bb.1682:                             ;   in Loop: Header=BB4_1681 Depth=1
	global_load_dword v0, v[10:11], off offset:20 glc dlc
	s_waitcnt vmcnt(0)
	buffer_gl1_inv
	buffer_gl0_inv
	v_and_b32_e32 v0, 1, v0
	s_branch .LBB4_1678
.LBB4_1683:
	s_and_saveexec_b32 s5, s4
	s_cbranch_execz .LBB4_1687
; %bb.1684:
	v_mov_b32_e32 v6, 0
	s_clause 0x2
	global_load_dwordx2 v[2:3], v6, s[26:27] offset:40
	global_load_dwordx2 v[7:8], v6, s[26:27] offset:24 glc dlc
	global_load_dwordx2 v[4:5], v6, s[26:27]
	s_waitcnt vmcnt(2)
	v_add_co_u32 v9, vcc_lo, v2, 1
	v_add_co_ci_u32_e32 v10, vcc_lo, 0, v3, vcc_lo
	v_add_co_u32 v0, vcc_lo, v9, s8
	v_add_co_ci_u32_e32 v1, vcc_lo, s9, v10, vcc_lo
	v_cmp_eq_u64_e32 vcc_lo, 0, v[0:1]
	v_cndmask_b32_e32 v1, v1, v10, vcc_lo
	v_cndmask_b32_e32 v0, v0, v9, vcc_lo
	v_and_b32_e32 v3, v1, v3
	v_and_b32_e32 v2, v0, v2
	v_mul_lo_u32 v3, v3, 24
	v_mul_hi_u32 v9, v2, 24
	v_mul_lo_u32 v2, v2, 24
	v_add_nc_u32_e32 v3, v9, v3
	s_waitcnt vmcnt(0)
	v_add_co_u32 v4, vcc_lo, v4, v2
	v_mov_b32_e32 v2, v7
	v_add_co_ci_u32_e32 v5, vcc_lo, v5, v3, vcc_lo
	v_mov_b32_e32 v3, v8
	global_store_dwordx2 v[4:5], v[7:8], off
	s_waitcnt_vscnt null, 0x0
	global_atomic_cmpswap_x2 v[2:3], v6, v[0:3], s[26:27] offset:24 glc
	s_waitcnt vmcnt(0)
	v_cmp_ne_u64_e32 vcc_lo, v[2:3], v[7:8]
	s_and_b32 exec_lo, exec_lo, vcc_lo
	s_cbranch_execz .LBB4_1687
; %bb.1685:
	s_mov_b32 s4, 0
.LBB4_1686:                             ; =>This Inner Loop Header: Depth=1
	s_sleep 1
	global_store_dwordx2 v[4:5], v[2:3], off
	s_waitcnt_vscnt null, 0x0
	global_atomic_cmpswap_x2 v[7:8], v6, v[0:3], s[26:27] offset:24 glc
	s_waitcnt vmcnt(0)
	v_cmp_eq_u64_e32 vcc_lo, v[7:8], v[2:3]
	v_mov_b32_e32 v2, v7
	v_mov_b32_e32 v3, v8
	s_or_b32 s4, vcc_lo, s4
	s_andn2_b32 exec_lo, exec_lo, s4
	s_cbranch_execnz .LBB4_1686
.LBB4_1687:
	s_or_b32 exec_lo, exec_lo, s5
	ds_read_b64 v[0:1], v41
	s_waitcnt lgkmcnt(0)
	flat_load_dword v2, v[0:1]
	s_waitcnt vmcnt(0) lgkmcnt(0)
	v_add_nc_u32_e32 v2, 1, v2
	flat_store_dword v[0:1], v2
.LBB4_1688:
	s_or_b32 exec_lo, exec_lo, s33
	s_add_u32 s8, s6, 16
	s_addc_u32 s9, s7, 0
	s_mov_b32 s12, s10
	s_mov_b32 s13, s11
	;; [unrolled: 1-line block ×3, first 2 shown]
	s_getpc_b64 s[4:5]
	s_add_u32 s4, s4, _ZN8migraphx4test4failEv@rel32@lo+4
	s_addc_u32 s5, s5, _ZN8migraphx4test4failEv@rel32@hi+12
	s_swappc_b64 s[30:31], s[4:5]
	; divergent unreachable
	s_endpgm
	.section	.rodata,"a",@progbits
	.p2align	6, 0x0
	.amdhsa_kernel gpu_test_kernel
		.amdhsa_group_segment_fixed_size 24576
		.amdhsa_private_segment_fixed_size 64
		.amdhsa_kernarg_size 272
		.amdhsa_user_sgpr_count 10
		.amdhsa_user_sgpr_private_segment_buffer 1
		.amdhsa_user_sgpr_dispatch_ptr 1
		.amdhsa_user_sgpr_queue_ptr 0
		.amdhsa_user_sgpr_kernarg_segment_ptr 1
		.amdhsa_user_sgpr_dispatch_id 0
		.amdhsa_user_sgpr_flat_scratch_init 1
		.amdhsa_user_sgpr_private_segment_size 0
		.amdhsa_wavefront_size32 1
		.amdhsa_uses_dynamic_stack 0
		.amdhsa_system_sgpr_private_segment_wavefront_offset 1
		.amdhsa_system_sgpr_workgroup_id_x 1
		.amdhsa_system_sgpr_workgroup_id_y 1
		.amdhsa_system_sgpr_workgroup_id_z 1
		.amdhsa_system_sgpr_workgroup_info 0
		.amdhsa_system_vgpr_workitem_id 2
		.amdhsa_next_free_vgpr 44
		.amdhsa_next_free_sgpr 46
		.amdhsa_reserve_vcc 1
		.amdhsa_reserve_flat_scratch 1
		.amdhsa_float_round_mode_32 0
		.amdhsa_float_round_mode_16_64 0
		.amdhsa_float_denorm_mode_32 3
		.amdhsa_float_denorm_mode_16_64 3
		.amdhsa_dx10_clamp 1
		.amdhsa_ieee_mode 1
		.amdhsa_fp16_overflow 0
		.amdhsa_workgroup_processor_mode 1
		.amdhsa_memory_ordered 1
		.amdhsa_forward_progress 0
		.amdhsa_shared_vgpr_count 0
		.amdhsa_exception_fp_ieee_invalid_op 0
		.amdhsa_exception_fp_denorm_src 0
		.amdhsa_exception_fp_ieee_div_zero 0
		.amdhsa_exception_fp_ieee_overflow 0
		.amdhsa_exception_fp_ieee_underflow 0
		.amdhsa_exception_fp_ieee_inexact 0
		.amdhsa_exception_int_div_zero 0
	.end_amdhsa_kernel
	.text
.Lfunc_end4:
	.size	gpu_test_kernel, .Lfunc_end4-gpu_test_kernel
                                        ; -- End function
	.section	.AMDGPU.csdata,"",@progbits
; Kernel info:
; codeLenInByte = 60784
; NumSgprs: 48
; NumVgprs: 44
; ScratchSize: 64
; MemoryBound: 0
; FloatMode: 240
; IeeeMode: 1
; LDSByteSize: 24576 bytes/workgroup (compile time only)
; SGPRBlocks: 5
; VGPRBlocks: 5
; NumSGPRsForWavesPerEU: 48
; NumVGPRsForWavesPerEU: 44
; Occupancy: 16
; WaveLimiterHint : 1
; COMPUTE_PGM_RSRC2:SCRATCH_EN: 1
; COMPUTE_PGM_RSRC2:USER_SGPR: 10
; COMPUTE_PGM_RSRC2:TRAP_HANDLER: 0
; COMPUTE_PGM_RSRC2:TGID_X_EN: 1
; COMPUTE_PGM_RSRC2:TGID_Y_EN: 1
; COMPUTE_PGM_RSRC2:TGID_Z_EN: 1
; COMPUTE_PGM_RSRC2:TIDIG_COMP_CNT: 2
	.text
	.p2alignl 6, 3214868480
	.fill 48, 4, 3214868480
	.type	.str,@object                    ; @.str
	.section	.rodata.str1.1,"aMS",@progbits,1
.str:
	.asciz	"not migraphx::equal(a.begin(), a.end(), b.begin(), [](int x, int y) { return x == y; })"
	.size	.str, 88

	.type	__PRETTY_FUNCTION__._ZL11equal_falseRN8migraphx4test12test_managerE,@object ; @__PRETTY_FUNCTION__._ZL11equal_falseRN8migraphx4test12test_managerE
__PRETTY_FUNCTION__._ZL11equal_falseRN8migraphx4test12test_managerE:
	.asciz	"void equal_false(migraphx::test::test_manager &)"
	.size	__PRETTY_FUNCTION__._ZL11equal_falseRN8migraphx4test12test_managerE, 49

	.type	.str.1,@object                  ; @.str.1
.str.1:
	.asciz	"/root/src/amdgpu-assembly/repos/ROCm__AMDMIGraphX/_shim/test_algorithm_14_shim.cpp"
	.size	.str.1, 83

	.type	.str.2,@object                  ; @.str.2
.str.2:
	.asciz	"    FAILED: "
	.size	.str.2, 13

	.type	.str.3,@object                  ; @.str.3
.str.3:
	.asciz	" [ "
	.size	.str.3, 4

	.type	.str.4,@object                  ; @.str.4
.str.4:
	.asciz	" ]"
	.size	.str.4, 3

	.type	.str.5,@object                  ; @.str.5
.str.5:
	.asciz	"%s"
	.size	.str.5, 3

	.type	.str.6,@object                  ; @.str.6
.str.6:
	.asciz	"%c"
	.size	.str.6, 3

	.type	.str.7,@object                  ; @.str.7
.str.7:
	.asciz	"%li"
	.size	.str.7, 4

	.type	.str.10,@object                 ; @.str.10
.str.10:
	.asciz	"true"
	.size	.str.10, 5

	.type	.str.11,@object                 ; @.str.11
.str.11:
	.asciz	"false"
	.size	.str.11, 6

	.type	.str.13,@object                 ; @.str.13
.str.13:
	.asciz	"migraphx::equal(a.begin(), a.end(), b.begin(), [](int x, int y) { return x * 2 == y; })"
	.size	.str.13, 88

	.type	__PRETTY_FUNCTION__._ZL22equal_custom_predicateRN8migraphx4test12test_managerE,@object ; @__PRETTY_FUNCTION__._ZL22equal_custom_predicateRN8migraphx4test12test_managerE
__PRETTY_FUNCTION__._ZL22equal_custom_predicateRN8migraphx4test12test_managerE:
	.asciz	"void equal_custom_predicate(migraphx::test::test_manager &)"
	.size	__PRETTY_FUNCTION__._ZL22equal_custom_predicateRN8migraphx4test12test_managerE, 60

	.type	__hip_cuid_fa7775796edd9b07,@object ; @__hip_cuid_fa7775796edd9b07
	.section	.bss,"aw",@nobits
	.globl	__hip_cuid_fa7775796edd9b07
__hip_cuid_fa7775796edd9b07:
	.byte	0                               ; 0x0
	.size	__hip_cuid_fa7775796edd9b07, 1

	.ident	"AMD clang version 19.0.0git (https://github.com/RadeonOpenCompute/llvm-project roc-6.4.0 25133 c7fe45cf4b819c5991fe208aaa96edf142730f1d)"
	.section	".note.GNU-stack","",@progbits
	.addrsig
	.addrsig_sym __hip_cuid_fa7775796edd9b07
	.amdgpu_metadata
---
amdhsa.kernels:
  - .args:
      - .offset:         0
        .size:           4
        .value_kind:     by_value
      - .address_space:  global
        .offset:         8
        .size:           8
        .value_kind:     global_buffer
      - .offset:         16
        .size:           4
        .value_kind:     hidden_block_count_x
      - .offset:         20
        .size:           4
        .value_kind:     hidden_block_count_y
      - .offset:         24
        .size:           4
        .value_kind:     hidden_block_count_z
      - .offset:         28
        .size:           2
        .value_kind:     hidden_group_size_x
      - .offset:         30
        .size:           2
        .value_kind:     hidden_group_size_y
      - .offset:         32
        .size:           2
        .value_kind:     hidden_group_size_z
      - .offset:         34
        .size:           2
        .value_kind:     hidden_remainder_x
      - .offset:         36
        .size:           2
        .value_kind:     hidden_remainder_y
      - .offset:         38
        .size:           2
        .value_kind:     hidden_remainder_z
      - .offset:         56
        .size:           8
        .value_kind:     hidden_global_offset_x
      - .offset:         64
        .size:           8
        .value_kind:     hidden_global_offset_y
      - .offset:         72
        .size:           8
        .value_kind:     hidden_global_offset_z
      - .offset:         80
        .size:           2
        .value_kind:     hidden_grid_dims
      - .offset:         96
        .size:           8
        .value_kind:     hidden_hostcall_buffer
    .group_segment_fixed_size: 24576
    .kernarg_segment_align: 8
    .kernarg_segment_size: 272
    .language:       OpenCL C
    .language_version:
      - 2
      - 0
    .max_flat_workgroup_size: 1024
    .name:           gpu_test_kernel
    .private_segment_fixed_size: 64
    .sgpr_count:     48
    .sgpr_spill_count: 0
    .symbol:         gpu_test_kernel.kd
    .uniform_work_group_size: 1
    .uses_dynamic_stack: false
    .vgpr_count:     44
    .vgpr_spill_count: 0
    .wavefront_size: 32
    .workgroup_processor_mode: 1
amdhsa.target:   amdgcn-amd-amdhsa--gfx1030
amdhsa.version:
  - 1
  - 2
...

	.end_amdgpu_metadata
